;; amdgpu-corpus repo=ROCm/rocFFT kind=compiled arch=gfx1201 opt=O3
	.text
	.amdgcn_target "amdgcn-amd-amdhsa--gfx1201"
	.amdhsa_code_object_version 6
	.protected	bluestein_single_back_len1365_dim1_half_op_CI_CI ; -- Begin function bluestein_single_back_len1365_dim1_half_op_CI_CI
	.globl	bluestein_single_back_len1365_dim1_half_op_CI_CI
	.p2align	8
	.type	bluestein_single_back_len1365_dim1_half_op_CI_CI,@function
bluestein_single_back_len1365_dim1_half_op_CI_CI: ; @bluestein_single_back_len1365_dim1_half_op_CI_CI
; %bb.0:
	s_load_b128 s[12:15], s[0:1], 0x28
	v_mul_u32_u24_e32 v1, 0x2d1, v0
	v_mov_b32_e32 v23, 0
	s_mov_b32 s2, exec_lo
	s_delay_alu instid0(VALU_DEP_2) | instskip(NEXT) | instid1(VALU_DEP_1)
	v_lshrrev_b32_e32 v2, 16, v1
	v_lshl_add_u32 v22, ttmp9, 1, v2
	s_wait_kmcnt 0x0
	s_delay_alu instid0(VALU_DEP_1)
	v_cmpx_gt_u64_e64 s[12:13], v[22:23]
	s_cbranch_execz .LBB0_23
; %bb.1:
	s_clause 0x1
	s_load_b128 s[4:7], s[0:1], 0x18
	s_load_b64 s[12:13], s[0:1], 0x0
	v_mul_lo_u16 v1, 0x5b, v2
	s_delay_alu instid0(VALU_DEP_1) | instskip(NEXT) | instid1(VALU_DEP_1)
	v_sub_nc_u16 v8, v0, v1
	v_and_b32_e32 v87, 0xffff, v8
	s_wait_kmcnt 0x0
	s_load_b128 s[8:11], s[4:5], 0x0
	s_wait_kmcnt 0x0
	v_mad_co_u64_u32 v[0:1], null, s10, v22, 0
	v_mad_co_u64_u32 v[3:4], null, s8, v87, 0
	s_mul_u64 s[2:3], s[8:9], 0x69
	s_delay_alu instid0(VALU_DEP_2) | instskip(NEXT) | instid1(VALU_DEP_2)
	v_mad_co_u64_u32 v[5:6], null, s11, v22, v[1:2]
	v_mov_b32_e32 v1, v4
	s_delay_alu instid0(VALU_DEP_1) | instskip(NEXT) | instid1(VALU_DEP_3)
	v_mad_co_u64_u32 v[6:7], null, s9, v87, v[1:2]
	v_dual_mov_b32 v1, v5 :: v_dual_and_b32 v2, 1, v2
	s_delay_alu instid0(VALU_DEP_1) | instskip(NEXT) | instid1(VALU_DEP_3)
	v_lshlrev_b64_e32 v[0:1], 2, v[0:1]
	v_mov_b32_e32 v4, v6
	v_lshlrev_b32_e32 v52, 2, v87
	s_clause 0x7
	global_load_b32 v92, v52, s[12:13]
	global_load_b32 v90, v52, s[12:13] offset:420
	global_load_b32 v88, v52, s[12:13] offset:840
	;; [unrolled: 1-line block ×7, first 2 shown]
	v_lshlrev_b64_e32 v[3:4], 2, v[3:4]
	v_add_co_u32 v0, vcc_lo, s14, v0
	v_add_co_ci_u32_e32 v1, vcc_lo, s15, v1, vcc_lo
	s_lshl_b64 s[14:15], s[2:3], 2
	s_delay_alu instid0(VALU_DEP_2) | instskip(SKIP_1) | instid1(VALU_DEP_2)
	v_add_co_u32 v0, vcc_lo, v0, v3
	s_wait_alu 0xfffd
	v_add_co_ci_u32_e32 v1, vcc_lo, v1, v4, vcc_lo
	s_clause 0x3
	global_load_b32 v76, v52, s[12:13] offset:3360
	global_load_b32 v74, v52, s[12:13] offset:3780
	;; [unrolled: 1-line block ×4, first 2 shown]
	s_wait_alu 0xfffe
	v_add_co_u32 v3, vcc_lo, v0, s14
	s_wait_alu 0xfffd
	v_add_co_ci_u32_e32 v4, vcc_lo, s15, v1, vcc_lo
	global_load_b32 v5, v[0:1], off
	v_add_co_u32 v0, vcc_lo, v3, s14
	s_wait_alu 0xfffd
	v_add_co_ci_u32_e32 v1, vcc_lo, s15, v4, vcc_lo
	global_load_b32 v6, v[3:4], off
	global_load_b32 v68, v52, s[12:13] offset:5040
	global_load_b32 v7, v[0:1], off
	v_add_co_u32 v0, vcc_lo, v0, s14
	s_wait_alu 0xfffd
	v_add_co_ci_u32_e32 v1, vcc_lo, s15, v1, vcc_lo
	v_add_co_u32 v20, s2, s12, v52
	s_delay_alu instid0(VALU_DEP_3) | instskip(SKIP_1) | instid1(VALU_DEP_3)
	v_add_co_u32 v3, vcc_lo, v0, s14
	s_wait_alu 0xfffd
	v_add_co_ci_u32_e32 v4, vcc_lo, s15, v1, vcc_lo
	global_load_b32 v9, v[0:1], off
	v_add_co_u32 v0, vcc_lo, v3, s14
	s_wait_alu 0xfffd
	v_add_co_ci_u32_e32 v1, vcc_lo, s15, v4, vcc_lo
	global_load_b32 v10, v[3:4], off
	global_load_b32 v11, v[0:1], off
	v_add_co_u32 v0, vcc_lo, v0, s14
	s_wait_alu 0xfffd
	v_add_co_ci_u32_e32 v1, vcc_lo, s15, v1, vcc_lo
	v_add_co_ci_u32_e64 v21, null, s13, 0, s2
	s_delay_alu instid0(VALU_DEP_3) | instskip(SKIP_1) | instid1(VALU_DEP_3)
	v_add_co_u32 v3, vcc_lo, v0, s14
	s_wait_alu 0xfffd
	v_add_co_ci_u32_e32 v4, vcc_lo, s15, v1, vcc_lo
	global_load_b32 v12, v[0:1], off
	global_load_b32 v13, v[3:4], off
	v_add_co_u32 v0, vcc_lo, v3, s14
	s_wait_alu 0xfffd
	v_add_co_ci_u32_e32 v1, vcc_lo, s15, v4, vcc_lo
	s_delay_alu instid0(VALU_DEP_2) | instskip(SKIP_1) | instid1(VALU_DEP_2)
	v_add_co_u32 v3, vcc_lo, v0, s14
	s_wait_alu 0xfffd
	v_add_co_ci_u32_e32 v4, vcc_lo, s15, v1, vcc_lo
	global_load_b32 v14, v[0:1], off
	v_add_co_u32 v0, vcc_lo, v3, s14
	s_wait_alu 0xfffd
	v_add_co_ci_u32_e32 v1, vcc_lo, s15, v4, vcc_lo
	global_load_b32 v15, v[3:4], off
	;; [unrolled: 4-line block ×4, first 2 shown]
	global_load_b32 v18, v[0:1], off
	v_cmp_eq_u32_e32 vcc_lo, 1, v2
	s_load_b64 s[10:11], s[0:1], 0x38
	s_load_b128 s[4:7], s[6:7], 0x0
	v_cndmask_b32_e64 v2, 0, 0x555, vcc_lo
	v_cmp_gt_u16_e32 vcc_lo, 14, v8
	s_delay_alu instid0(VALU_DEP_2) | instskip(NEXT) | instid1(VALU_DEP_1)
	v_lshlrev_b32_e32 v95, 2, v2
	v_add_nc_u32_e32 v67, v95, v52
	s_delay_alu instid0(VALU_DEP_1)
	v_add_nc_u32_e32 v2, 0x200, v67
	v_add_nc_u32_e32 v3, 0x600, v67
	;; [unrolled: 1-line block ×3, first 2 shown]
	s_wait_loadcnt 0x19
	v_lshrrev_b32_e32 v94, 16, v92
	s_wait_loadcnt 0x18
	v_lshrrev_b32_e32 v93, 16, v90
	;; [unrolled: 2-line block ×13, first 2 shown]
	v_mul_f16_e32 v23, v94, v5
	s_wait_loadcnt 0xc
	v_lshrrev_b32_e32 v25, 16, v6
	s_delay_alu instid0(VALU_DEP_3)
	v_mul_f16_e32 v24, v94, v19
	v_mul_f16_e32 v26, v93, v6
	v_fma_f16 v19, v92, v19, -v23
	s_wait_loadcnt 0xa
	v_lshrrev_b32_e32 v23, 16, v7
	v_lshrrev_b32_e32 v28, 16, v68
	v_fmac_f16_e32 v24, v92, v5
	v_mul_f16_e32 v5, v93, v25
	v_fma_f16 v25, v90, v25, -v26
	v_mul_f16_e32 v26, v91, v7
	s_delay_alu instid0(VALU_DEP_4) | instskip(NEXT) | instid1(VALU_DEP_4)
	v_pack_b32_f16 v19, v24, v19
	v_fmac_f16_e32 v5, v90, v6
	v_mul_f16_e32 v6, v91, v23
	s_wait_loadcnt 0x9
	v_lshrrev_b32_e32 v24, 16, v9
	v_mul_f16_e32 v27, v89, v9
	v_fma_f16 v23, v88, v23, -v26
	v_pack_b32_f16 v5, v5, v25
	v_fmac_f16_e32 v6, v88, v7
	v_mul_f16_e32 v7, v89, v24
	s_wait_loadcnt 0x8
	v_lshrrev_b32_e32 v25, 16, v10
	v_fma_f16 v24, v85, v24, -v27
	v_mul_f16_e32 v26, v86, v10
	ds_store_2addr_b32 v67, v19, v5 offset1:105
	v_pack_b32_f16 v5, v6, v23
	v_fmac_f16_e32 v7, v85, v9
	v_mul_f16_e32 v6, v86, v25
	s_wait_loadcnt 0x7
	v_lshrrev_b32_e32 v9, 16, v11
	v_mul_f16_e32 v19, v35, v11
	v_fma_f16 v23, v83, v25, -v26
	v_pack_b32_f16 v7, v7, v24
	v_fmac_f16_e32 v6, v83, v10
	v_mul_f16_e32 v10, v35, v9
	v_fma_f16 v9, v81, v9, -v19
	s_wait_loadcnt 0x6
	v_lshrrev_b32_e32 v19, 16, v12
	v_mul_f16_e32 v24, v34, v12
	ds_store_2addr_b32 v2, v5, v7 offset0:82 offset1:187
	v_pack_b32_f16 v5, v6, v23
	v_fmac_f16_e32 v10, v81, v11
	v_mul_f16_e32 v6, v34, v19
	s_wait_loadcnt 0x5
	v_lshrrev_b32_e32 v7, 16, v13
	v_mul_f16_e32 v11, v33, v13
	v_fma_f16 v19, v79, v19, -v24
	v_pack_b32_f16 v9, v10, v9
	v_fmac_f16_e32 v6, v79, v12
	v_mul_f16_e32 v10, v33, v7
	v_fma_f16 v7, v78, v7, -v11
	s_wait_loadcnt 0x4
	v_lshrrev_b32_e32 v11, 16, v14
	v_mul_f16_e32 v12, v32, v14
	ds_store_2addr_b32 v3, v5, v9 offset0:36 offset1:141
	v_pack_b32_f16 v9, v6, v19
	v_fmac_f16_e32 v10, v78, v13
	v_mul_f16_e32 v5, v32, v11
	s_wait_loadcnt 0x3
	v_lshrrev_b32_e32 v6, 16, v15
	v_fma_f16 v11, v76, v11, -v12
	v_mul_f16_e32 v12, v31, v15
	v_pack_b32_f16 v7, v10, v7
	v_fmac_f16_e32 v5, v76, v14
	v_mul_f16_e32 v10, v31, v6
	s_wait_loadcnt 0x2
	v_lshrrev_b32_e32 v13, 16, v16
	v_fma_f16 v6, v74, v6, -v12
	v_mul_f16_e32 v12, v30, v16
	v_pack_b32_f16 v11, v5, v11
	v_fmac_f16_e32 v10, v74, v15
	s_wait_loadcnt 0x1
	v_lshrrev_b32_e32 v5, 16, v17
	s_wait_loadcnt 0x0
	v_lshrrev_b32_e32 v15, 16, v18
	v_mul_f16_e32 v14, v30, v13
	v_fma_f16 v12, v72, v13, -v12
	v_mul_f16_e32 v13, v29, v17
	v_pack_b32_f16 v10, v10, v6
	v_mul_f16_e32 v6, v29, v5
	v_mul_f16_e32 v19, v28, v15
	;; [unrolled: 1-line block ×3, first 2 shown]
	v_fma_f16 v13, v69, v5, -v13
	v_fmac_f16_e32 v14, v72, v16
	v_fmac_f16_e32 v6, v69, v17
	;; [unrolled: 1-line block ×3, first 2 shown]
	v_fma_f16 v15, v68, v15, -v23
	v_add_nc_u32_e32 v5, 0xc00, v67
	v_pack_b32_f16 v12, v14, v12
	v_pack_b32_f16 v13, v6, v13
	v_add_nc_u32_e32 v6, 0x1000, v67
	v_pack_b32_f16 v14, v19, v15
	ds_store_2addr_b32 v4, v9, v7 offset0:118 offset1:223
	ds_store_2addr_b32 v5, v11, v10 offset0:72 offset1:177
	;; [unrolled: 1-line block ×3, first 2 shown]
	ds_store_b32 v67, v14 offset:5040
	s_and_saveexec_b32 s3, vcc_lo
	s_cbranch_execz .LBB0_3
; %bb.2:
	v_mad_co_u64_u32 v[0:1], null, 0xffffedbc, s8, v[0:1]
	s_mul_i32 s2, s9, 0xffffedbc
	s_wait_alu 0xfffe
	s_sub_co_i32 s2, s2, s8
	s_wait_alu 0xfffe
	s_delay_alu instid0(VALU_DEP_1) | instskip(NEXT) | instid1(VALU_DEP_2)
	v_add_nc_u32_e32 v1, s2, v1
	v_add_co_u32 v7, s2, v0, s14
	s_wait_alu 0xf1ff
	s_delay_alu instid0(VALU_DEP_2)
	v_add_co_ci_u32_e64 v8, s2, s15, v1, s2
	s_clause 0x7
	global_load_b32 v11, v[20:21], off offset:364
	global_load_b32 v12, v[20:21], off offset:784
	;; [unrolled: 1-line block ×8, first 2 shown]
	global_load_b32 v19, v[0:1], off
	global_load_b32 v23, v[7:8], off
	s_clause 0x3
	global_load_b32 v24, v[20:21], off offset:3724
	global_load_b32 v25, v[20:21], off offset:4144
	;; [unrolled: 1-line block ×4, first 2 shown]
	v_add_co_u32 v0, s2, v7, s14
	s_wait_alu 0xf1ff
	v_add_co_ci_u32_e64 v1, s2, s15, v8, s2
	global_load_b32 v28, v[20:21], off offset:5404
	v_add_co_u32 v7, s2, v0, s14
	s_wait_alu 0xf1ff
	v_add_co_ci_u32_e64 v8, s2, s15, v1, s2
	global_load_b32 v29, v[0:1], off
	global_load_b32 v30, v[7:8], off
	v_add_co_u32 v0, s2, v7, s14
	s_wait_alu 0xf1ff
	v_add_co_ci_u32_e64 v1, s2, s15, v8, s2
	s_delay_alu instid0(VALU_DEP_2) | instskip(SKIP_1) | instid1(VALU_DEP_2)
	v_add_co_u32 v7, s2, v0, s14
	s_wait_alu 0xf1ff
	v_add_co_ci_u32_e64 v8, s2, s15, v1, s2
	global_load_b32 v31, v[0:1], off
	global_load_b32 v32, v[7:8], off
	v_add_co_u32 v0, s2, v7, s14
	s_wait_alu 0xf1ff
	v_add_co_ci_u32_e64 v1, s2, s15, v8, s2
	s_delay_alu instid0(VALU_DEP_2) | instskip(SKIP_1) | instid1(VALU_DEP_2)
	v_add_co_u32 v7, s2, v0, s14
	s_wait_alu 0xf1ff
	v_add_co_ci_u32_e64 v8, s2, s15, v1, s2
	global_load_b32 v33, v[0:1], off
	v_add_co_u32 v0, s2, v7, s14
	s_wait_alu 0xf1ff
	v_add_co_ci_u32_e64 v1, s2, s15, v8, s2
	global_load_b32 v34, v[7:8], off
	;; [unrolled: 4-line block ×4, first 2 shown]
	v_add_co_u32 v7, s2, v0, s14
	s_wait_alu 0xf1ff
	v_add_co_ci_u32_e64 v8, s2, s15, v1, s2
	s_delay_alu instid0(VALU_DEP_2) | instskip(SKIP_1) | instid1(VALU_DEP_2)
	v_add_co_u32 v9, s2, v7, s14
	s_wait_alu 0xf1ff
	v_add_co_ci_u32_e64 v10, s2, s15, v8, s2
	global_load_b32 v0, v[0:1], off
	global_load_b32 v1, v[7:8], off
	;; [unrolled: 1-line block ×3, first 2 shown]
	v_add_nc_u32_e32 v8, 0x400, v67
	v_add_nc_u32_e32 v9, 0xa00, v67
	s_wait_loadcnt 0x19
	v_lshrrev_b32_e32 v10, 16, v11
	s_wait_loadcnt 0x18
	v_lshrrev_b32_e32 v37, 16, v12
	;; [unrolled: 2-line block ×9, first 2 shown]
	v_mul_f16_e32 v49, v10, v19
	s_wait_loadcnt 0x10
	v_lshrrev_b32_e32 v50, 16, v23
	v_mul_f16_e32 v53, v37, v23
	s_wait_loadcnt 0xf
	v_lshrrev_b32_e32 v44, 16, v24
	v_mul_f16_e32 v10, v10, v45
	v_fma_f16 v45, v11, v45, -v49
	s_wait_loadcnt 0xe
	v_lshrrev_b32_e32 v46, 16, v25
	s_wait_loadcnt 0xd
	v_lshrrev_b32_e32 v47, 16, v26
	;; [unrolled: 2-line block ×3, first 2 shown]
	v_fmac_f16_e32 v10, v11, v19
	v_mul_f16_e32 v11, v37, v50
	v_fma_f16 v37, v12, v50, -v53
	s_wait_loadcnt 0xb
	v_lshrrev_b32_e32 v51, 16, v28
	v_pack_b32_f16 v10, v10, v45
	s_wait_loadcnt 0xa
	v_lshrrev_b32_e32 v19, 16, v29
	v_mul_f16_e32 v49, v38, v29
	v_fmac_f16_e32 v11, v12, v23
	s_wait_loadcnt 0x9
	v_lshrrev_b32_e32 v23, 16, v30
	v_mul_f16_e32 v12, v38, v19
	v_mul_f16_e32 v38, v39, v30
	v_fma_f16 v19, v13, v19, -v49
	v_pack_b32_f16 v11, v11, v37
	s_delay_alu instid0(VALU_DEP_4)
	v_fmac_f16_e32 v12, v13, v29
	v_mul_f16_e32 v13, v39, v23
	s_wait_loadcnt 0x8
	v_lshrrev_b32_e32 v29, 16, v31
	v_fma_f16 v23, v14, v23, -v38
	v_mul_f16_e32 v37, v40, v31
	ds_store_2addr_b32 v67, v10, v11 offset0:91 offset1:196
	v_pack_b32_f16 v10, v12, v19
	v_fmac_f16_e32 v13, v14, v30
	v_mul_f16_e32 v11, v40, v29
	s_wait_loadcnt 0x7
	v_lshrrev_b32_e32 v12, 16, v32
	v_mul_f16_e32 v14, v41, v32
	v_fma_f16 v19, v15, v29, -v37
	v_pack_b32_f16 v13, v13, v23
	v_fmac_f16_e32 v11, v15, v31
	v_mul_f16_e32 v15, v41, v12
	v_fma_f16 v12, v16, v12, -v14
	s_wait_loadcnt 0x6
	v_lshrrev_b32_e32 v14, 16, v33
	v_mul_f16_e32 v23, v42, v33
	ds_store_2addr_b32 v8, v10, v13 offset0:45 offset1:150
	v_pack_b32_f16 v8, v11, v19
	v_fmac_f16_e32 v15, v16, v32
	v_mul_f16_e32 v10, v42, v14
	s_wait_loadcnt 0x5
	v_lshrrev_b32_e32 v11, 16, v34
	v_fma_f16 v13, v17, v14, -v23
	v_mul_f16_e32 v14, v43, v34
	s_wait_loadcnt 0x4
	v_lshrrev_b32_e32 v16, 16, v35
	v_fmac_f16_e32 v10, v17, v33
	v_pack_b32_f16 v12, v15, v12
	v_mul_f16_e32 v15, v43, v11
	v_fma_f16 v11, v18, v11, -v14
	v_mul_f16_e32 v14, v44, v35
	v_pack_b32_f16 v10, v10, v13
	v_mul_f16_e32 v13, v44, v16
	v_fmac_f16_e32 v15, v18, v34
	s_wait_loadcnt 0x3
	v_lshrrev_b32_e32 v17, 16, v36
	v_mul_f16_e32 v18, v46, v36
	v_fma_f16 v14, v24, v16, -v14
	v_fmac_f16_e32 v13, v24, v35
	v_pack_b32_f16 v11, v15, v11
	v_mul_f16_e32 v15, v46, v17
	v_fma_f16 v16, v25, v17, -v18
	s_wait_loadcnt 0x2
	v_lshrrev_b32_e32 v17, 16, v0
	v_mul_f16_e32 v18, v47, v0
	v_pack_b32_f16 v13, v13, v14
	s_wait_loadcnt 0x1
	v_lshrrev_b32_e32 v14, 16, v1
	s_wait_loadcnt 0x0
	v_lshrrev_b32_e32 v19, 16, v7
	v_mul_f16_e32 v23, v47, v17
	v_fma_f16 v17, v26, v17, -v18
	v_mul_f16_e32 v18, v48, v1
	v_mul_f16_e32 v24, v48, v14
	v_fmac_f16_e32 v15, v25, v36
	v_mul_f16_e32 v25, v51, v19
	v_mul_f16_e32 v29, v51, v7
	v_fmac_f16_e32 v23, v26, v0
	v_fma_f16 v0, v27, v14, -v18
	v_fmac_f16_e32 v24, v27, v1
	v_fmac_f16_e32 v25, v28, v7
	v_fma_f16 v1, v28, v19, -v29
	v_pack_b32_f16 v7, v15, v16
	v_add_nc_u32_e32 v14, 0xe00, v67
	v_pack_b32_f16 v15, v23, v17
	v_pack_b32_f16 v0, v24, v0
	;; [unrolled: 1-line block ×3, first 2 shown]
	ds_store_2addr_b32 v3, v8, v12 offset0:127 offset1:232
	ds_store_2addr_b32 v9, v10, v11 offset0:81 offset1:186
	;; [unrolled: 1-line block ×4, first 2 shown]
	ds_store_b32 v67, v1 offset:5404
.LBB0_3:
	s_wait_alu 0xfffe
	s_or_b32 exec_lo, exec_lo, s3
	global_wb scope:SCOPE_SE
	s_wait_dscnt 0x0
	s_wait_kmcnt 0x0
	s_barrier_signal -1
	s_barrier_wait -1
	global_inv scope:SCOPE_SE
	ds_load_2addr_b32 v[16:17], v67 offset1:105
	ds_load_2addr_b32 v[33:34], v2 offset0:82 offset1:187
	ds_load_2addr_b32 v[29:30], v3 offset0:36 offset1:141
	;; [unrolled: 1-line block ×5, first 2 shown]
	ds_load_b32 v37, v67 offset:5040
	v_mov_b32_e32 v0, 0
                                        ; implicit-def: $vgpr5
                                        ; implicit-def: $vgpr6
                                        ; implicit-def: $vgpr9
                                        ; implicit-def: $vgpr2
                                        ; implicit-def: $vgpr11
                                        ; implicit-def: $vgpr19
	s_and_saveexec_b32 s2, vcc_lo
	s_cbranch_execz .LBB0_5
; %bb.4:
	v_add_nc_u32_e32 v2, 0x400, v67
	v_add_nc_u32_e32 v3, 0x600, v67
	;; [unrolled: 1-line block ×5, first 2 shown]
	ds_load_2addr_b32 v[0:1], v67 offset0:91 offset1:196
	ds_load_2addr_b32 v[10:11], v2 offset0:45 offset1:150
	;; [unrolled: 1-line block ×6, first 2 shown]
	ds_load_b32 v19, v67 offset:5404
.LBB0_5:
	s_wait_alu 0xfffe
	s_or_b32 exec_lo, exec_lo, s2
	s_wait_dscnt 0x0
	v_pk_add_f16 v13, v19, v1
	v_pk_add_f16 v12, v1, v19 neg_lo:[0,1] neg_hi:[0,1]
	v_pk_add_f16 v40, v10, v3 neg_lo:[0,1] neg_hi:[0,1]
	;; [unrolled: 1-line block ×4, first 2 shown]
	v_lshrrev_b32_e32 v15, 16, v13
	v_mul_f16_e32 v14, 0xb770, v12
	v_mul_f16_e32 v18, 0xba95, v12
	;; [unrolled: 1-line block ×5, first 2 shown]
	v_fmamk_f16 v24, v15, 0x3b15, v14
	v_fma_f16 v25, v15, 0x3b15, -v14
	v_fmamk_f16 v26, v15, 0x388b, v18
	v_fma_f16 v38, v15, 0x388b, -v18
	v_mul_f16_e32 v18, 0xbb7b, v12
	v_pk_add_f16 v14, v3, v10
	v_fmamk_f16 v39, v15, 0x2fb7, v23
	v_fma_f16 v23, v15, 0x2fb7, -v23
	v_fmamk_f16 v45, v15, 0xb9fd, v41
	v_fmamk_f16 v42, v15, 0xb5ac, v18
	v_fma_f16 v43, v15, 0xb5ac, -v18
	v_lshrrev_b32_e32 v18, 16, v14
	v_fma_f16 v41, v15, 0xb9fd, -v41
	v_mul_f16_e32 v15, 0xb3a8, v40
	v_mul_f16_e32 v46, 0xbb7b, v40
	v_mul_f16_e32 v50, 0x394e, v40
	v_mul_f16_e32 v54, 0x3bf1, v40
	v_fmamk_f16 v47, v18, 0x388b, v44
	v_fmamk_f16 v49, v18, 0xbbc4, v15
	v_fma_f16 v51, v18, 0xbbc4, -v15
	v_pk_add_f16 v15, v2, v11
	v_fma_f16 v44, v18, 0x388b, -v44
	v_fmamk_f16 v48, v18, 0xb5ac, v46
	v_fma_f16 v46, v18, 0xb5ac, -v46
	v_fmamk_f16 v55, v18, 0xb9fd, v50
	v_fma_f16 v50, v18, 0xb9fd, -v50
	v_lshrrev_b32_e32 v56, 16, v15
	v_fmamk_f16 v58, v18, 0x2fb7, v54
	v_fma_f16 v54, v18, 0x2fb7, -v54
	v_mul_f16_e32 v18, 0x3b7b, v53
	v_mul_f16_e32 v57, 0xbbf1, v53
	;; [unrolled: 1-line block ×5, first 2 shown]
	v_fmamk_f16 v62, v56, 0xb5ac, v18
	v_fma_f16 v64, v56, 0xb5ac, -v18
	v_pk_add_f16 v18, v7, v8
	v_pk_add_f16 v105, v6, v9
	v_pk_add_f16 v106, v9, v6 neg_lo:[0,1] neg_hi:[0,1]
	v_pk_add_f16 v117, v5, v4
	v_pk_add_f16 v118, v4, v5 neg_lo:[0,1] neg_hi:[0,1]
	v_fmamk_f16 v60, v56, 0x2fb7, v57
	v_fma_f16 v57, v56, 0x2fb7, -v57
	v_fmamk_f16 v61, v56, 0xbbc4, v59
	v_fma_f16 v59, v56, 0xbbc4, -v59
	;; [unrolled: 2-line block ×3, first 2 shown]
	v_lshrrev_b32_e32 v97, 16, v18
	v_mul_f16_e32 v98, 0xbb7b, v65
	v_fmamk_f16 v99, v56, 0x388b, v66
	v_mul_f16_e32 v100, 0x394e, v65
	v_fma_f16 v56, v56, 0x388b, -v66
	v_mul_f16_e32 v66, 0x3770, v65
	v_mul_f16_e32 v104, 0xbbf1, v65
	;; [unrolled: 1-line block ×3, first 2 shown]
	v_lshrrev_b32_e32 v109, 16, v105
	v_mul_f16_e32 v110, 0xb94e, v106
	v_mul_f16_e32 v112, 0x3bf1, v106
	;; [unrolled: 1-line block ×5, first 2 shown]
	v_lshrrev_b32_e32 v121, 16, v117
	v_mul_f16_e32 v122, 0xb3a8, v118
	v_mul_f16_e32 v124, 0x3770, v118
	;; [unrolled: 1-line block ×4, first 2 shown]
	v_mul_f16_e64 v129, 0xbb7b, v118
	v_lshrrev_b32_e32 v133, 16, v12
	v_fmamk_f16 v101, v97, 0xb5ac, v98
	v_fma_f16 v98, v97, 0xb5ac, -v98
	v_fmamk_f16 v102, v97, 0xb9fd, v100
	v_fma_f16 v100, v97, 0xb9fd, -v100
	;; [unrolled: 2-line block ×12, first 2 shown]
	v_fma_f16 v128, 0xb9fd, v121, v125
	v_fma_f16 v125, v121, 0xb9fd, -v125
	v_fma_f16 v130, 0x388b, v121, v127
	v_fma_f16 v127, v121, 0x388b, -v127
	;; [unrolled: 2-line block ×3, first 2 shown]
	v_mul_f16_e64 v129, 0xb770, v133
	v_lshrrev_b32_e32 v134, 16, v40
	v_lshrrev_b32_e32 v131, 16, v0
	v_mul_f16_e64 v137, 0xba95, v133
	v_pk_mul_f16 v40, 0x3770, v40 op_sel_hi:[0,1]
	v_fma_f16 v135, v13, 0x3b15, -v129
	v_mul_f16_e64 v136, 0xba95, v134
	v_fmac_f16_e64 v129, 0x3b15, v13
	v_add_f16_e64 v24, v24, v131
	v_add_f16_e64 v25, v25, v131
	;; [unrolled: 1-line block ×3, first 2 shown]
	v_fma_f16 v138, v14, 0x388b, -v136
	v_add_f16_e64 v26, v26, v131
	v_add_f16_e64 v38, v38, v131
	v_add_f16_e64 v39, v39, v131
	v_add_f16_e64 v23, v23, v131
	v_add_f16_e64 v42, v42, v131
	v_add_f16_e64 v43, v43, v131
	v_add_f16_e64 v45, v45, v131
	v_add_f16_e64 v41, v41, v131
	v_fmac_f16_e64 v136, 0x388b, v14
	v_add_f16_e64 v129, v129, v0
	v_fma_f16 v131, v13, 0x388b, -v137
	v_add_f16_e64 v135, v138, v135
	v_mul_f16_e64 v138, 0xbb7b, v134
	v_add_f16_e32 v24, v47, v24
	v_add_f16_e64 v47, v136, v129
	v_add_f16_e64 v129, v131, v0
	v_fmac_f16_e64 v137, 0x388b, v13
	v_fma_f16 v131, v14, 0xb5ac, -v138
	v_mul_f16_e64 v136, 0xbbf1, v133
	v_add_f16_e32 v25, v44, v25
	v_fmac_f16_e64 v138, 0xb5ac, v14
	v_add_f16_e64 v44, v137, v0
	v_add_f16_e64 v129, v131, v129
	v_fma_f16 v131, v13, 0x2fb7, -v136
	v_mul_f16_e64 v137, 0xb3a8, v134
	v_add_f16_e32 v26, v48, v26
	v_add_f16_e64 v44, v138, v44
	v_fmac_f16_e64 v136, 0x2fb7, v13
	v_add_f16_e64 v48, v131, v0
	v_fma_f16 v131, v14, 0xbbc4, -v137
	v_mul_f16_e64 v138, 0xbb7b, v133
	v_fmac_f16_e64 v137, 0xbbc4, v14
	v_add_f16_e64 v136, v136, v0
	v_add_f16_e32 v38, v46, v38
	v_add_f16_e64 v46, v131, v48
	v_fma_f16 v48, v13, 0xb5ac, -v138
	v_mul_f16_e64 v131, 0x394e, v134
	v_add_f16_e32 v23, v51, v23
	v_mul_f16_e64 v51, 0xb94e, v133
	v_add_f16_e32 v39, v49, v39
	v_add_f16_e64 v49, v137, v136
	v_add_f16_e32 v48, v48, v0
	v_fma_f16 v133, v14, 0xb9fd, -v131
	v_fma_f16 v136, v13, 0xb9fd, -v51
	v_mul_f16_e64 v134, 0x3bf1, v134
	v_add_f16_e32 v42, v55, v42
	v_add_f16_e32 v43, v50, v43
	v_add_f16_e64 v48, v133, v48
	v_add_f16_e64 v55, v136, v0
	v_fma_f16 v133, v14, 0x2fb7, -v134
	v_fmac_f16_e32 v51, 0xb9fd, v13
	v_pk_mul_f16 v50, 0xb3a8, v12 op_sel_hi:[0,1]
	v_fmac_f16_e64 v134, 0x2fb7, v14
	v_add_f16_e32 v45, v58, v45
	v_add_f16_e64 v12, v133, v55
	v_lshrrev_b32_e32 v55, 16, v53
	v_add_f16_e32 v51, v51, v0
	v_pk_fma_f16 v133, 0xbbc4, v13, v50 op_sel:[0,0,1] op_sel_hi:[0,1,0] neg_lo:[0,0,1] neg_hi:[0,0,1]
	v_add_f16_e32 v41, v54, v41
	v_add_f16_e32 v24, v60, v24
	v_mul_f16_e64 v136, 0xbbf1, v55
	v_add_f16_e64 v51, v134, v51
	v_pk_add_f16 v58, v133, v0
	v_pk_fma_f16 v133, 0x3b15, v14, v40 op_sel:[0,0,1] op_sel_hi:[0,1,0] neg_lo:[0,0,1] neg_hi:[0,0,1]
	v_mul_f16_e32 v54, 0xb3a8, v55
	v_fma_f16 v134, v15, 0x2fb7, -v136
	v_add_f16_e32 v25, v57, v25
	v_add_f16_e32 v38, v59, v38
	v_pk_add_f16 v58, v133, v58
	v_fma_f16 v60, v15, 0xbbc4, -v54
	v_add_f16_e64 v133, v134, v135
	v_mul_f16_e64 v134, 0x3b7b, v55
	v_fmac_f16_e32 v54, 0xbbc4, v15
	v_pk_mul_f16 v53, 0xb94e, v53 op_sel_hi:[0,1]
	v_add_f16_e64 v57, v60, v129
	v_fmac_f16_e64 v136, 0x2fb7, v15
	v_fma_f16 v60, v15, 0xb5ac, -v134
	v_add_f16_e32 v44, v54, v44
	v_mul_f16_e32 v54, 0x3770, v55
	v_fmac_f16_e64 v134, 0xb5ac, v15
	v_add_f16_e32 v26, v61, v26
	v_add_f16_e32 v46, v60, v46
	v_add_f16_e32 v41, v56, v41
	v_fma_f16 v59, v15, 0x3b15, -v54
	v_add_f16_e64 v60, v134, v49
	v_mul_f16_e32 v49, 0xba95, v55
	v_lshrrev_b32_e32 v55, 16, v65
	v_add_f16_e64 v47, v136, v47
	v_add_f16_e32 v48, v59, v48
	v_fmac_f16_e64 v138, 0xb5ac, v13
	v_fma_f16 v59, v15, 0x388b, -v49
	v_fmac_f16_e32 v49, 0x388b, v15
	v_mul_f16_e32 v61, 0xbb7b, v55
	v_mul_f16_e32 v56, 0x394e, v55
	s_load_b64 s[2:3], s[0:1], 0x8
	v_add_f16_e32 v12, v59, v12
	v_add_f16_e32 v51, v49, v51
	v_pk_fma_f16 v49, 0xb9fd, v15, v53 op_sel:[0,0,1] op_sel_hi:[0,1,0] neg_lo:[0,0,1] neg_hi:[0,0,1]
	v_fma_f16 v59, v18, 0xb5ac, -v61
	v_fmac_f16_e32 v61, 0xb5ac, v18
	v_fmac_f16_e64 v131, 0xb9fd, v14
	v_add_f16_e64 v137, v138, v0
	v_pk_add_f16 v58, v49, v58
	v_fma_f16 v49, v18, 0xb9fd, -v56
	v_fmac_f16_e32 v56, 0xb9fd, v18
	v_add_f16_e32 v47, v61, v47
	v_mul_f16_e32 v61, 0x3770, v55
	v_add_f16_e32 v39, v62, v39
	v_add_f16_e32 v57, v49, v57
	v_add_co_u32 v49, s0, 0x5b, v87
	v_add_f16_e32 v44, v56, v44
	s_wait_alu 0xf1ff
	v_add_co_ci_u32_e64 v56, null, 0, 0, s0
	v_fma_f16 v62, v18, 0x3b15, -v61
	v_mul_f16_e32 v56, 0xbbf1, v55
	v_fmac_f16_e32 v61, 0x3b15, v18
	v_mul_f16_e32 v55, 0x33a8, v55
	v_add_f16_e64 v131, v131, v137
	v_fmac_f16_e32 v54, 0x3b15, v15
	v_add_f16_e32 v23, v64, v23
	v_add_f16_e32 v60, v61, v60
	v_lshrrev_b32_e32 v61, 16, v106
	v_fma_f16 v64, v18, 0xbbc4, -v55
	v_fmac_f16_e32 v55, 0xbbc4, v18
	v_pk_mul_f16 v65, 0x3a95, v65 op_sel_hi:[0,1]
	v_add_f16_e32 v42, v96, v42
	v_add_f16_e64 v54, v54, v131
	v_add_f16_e32 v43, v63, v43
	v_add_f16_e32 v25, v98, v25
	v_fma_f16 v63, v18, 0x2fb7, -v56
	v_fmac_f16_e32 v56, 0x2fb7, v18
	v_add_f16_e32 v23, v66, v23
	v_add_f16_e32 v51, v55, v51
	v_pk_fma_f16 v55, 0x388b, v18, v65 op_sel:[0,0,1] op_sel_hi:[0,1,0] neg_lo:[0,0,1] neg_hi:[0,0,1]
	v_mul_f16_e32 v98, 0x33a8, v61
	v_pk_mul_f16 v106, 0xbb7b, v106 op_sel_hi:[0,1]
	v_add_f16_e32 v26, v102, v26
	v_add_f16_e32 v46, v62, v46
	v_pk_add_f16 v62, v16, v17
	v_add_f16_e32 v48, v63, v48
	v_mul_f16_e32 v63, 0xb94e, v61
	v_add_f16_e32 v42, v108, v42
	v_add_f16_e32 v54, v56, v54
	;; [unrolled: 1-line block ×3, first 2 shown]
	v_mul_f16_e32 v64, 0xba95, v61
	v_pk_add_f16 v55, v55, v58
	v_fma_f16 v58, v105, 0xbbc4, -v98
	v_fmac_f16_e32 v98, 0xbbc4, v105
	v_add_f16_e32 v25, v110, v25
	v_add_f16_e32 v108, v113, v23
	v_pk_fma_f16 v23, 0xb5ac, v105, v106 op_sel:[0,0,1] op_sel_hi:[0,1,0] neg_lo:[0,0,1] neg_hi:[0,0,1]
	v_add_f16_e64 v59, v59, v133
	v_add_f16_e32 v38, v100, v38
	v_mul_f16_e32 v66, 0x3bf1, v61
	v_fma_f16 v56, v105, 0xb9fd, -v63
	v_add_f16_e32 v41, v97, v41
	v_fma_f16 v97, v105, 0x388b, -v64
	v_mul_f16_e32 v61, 0x3770, v61
	v_add_f16_e32 v26, v114, v26
	v_add_f16_e32 v54, v98, v54
	v_pk_add_f16 v55, v23, v55
	v_add_f16_e32 v98, v122, v25
	v_pk_fma_f16 v23, 0xbbc4, v13, v50 op_sel:[0,0,1] op_sel_hi:[0,1,0]
	v_pk_add_f16 v25, v62, v33
	v_add_f16_e32 v45, v99, v45
	v_add_f16_e32 v39, v103, v39
	v_fmac_f16_e32 v63, 0xb9fd, v105
	v_add_f16_e32 v56, v56, v59
	v_lshrrev_b32_e32 v59, 16, v118
	v_fma_f16 v99, v105, 0x3b15, -v61
	v_add_f16_e32 v38, v112, v38
	v_add_f16_e32 v103, v97, v46
	;; [unrolled: 1-line block ×3, first 2 shown]
	v_pk_add_f16 v23, v23, v0
	v_pk_fma_f16 v26, 0x3b15, v14, v40 op_sel:[0,0,1] op_sel_hi:[0,1,0]
	v_pk_add_f16 v25, v25, v34
	v_fma_f16 v96, v105, 0x2fb7, -v66
	v_add_f16_e32 v47, v63, v47
	v_mul_f16_e32 v63, 0xb3a8, v59
	v_add_f16_e32 v48, v58, v48
	v_add_f16_e32 v58, v99, v12
	;; [unrolled: 1-line block ×3, first 2 shown]
	v_pk_add_f16 v26, v26, v23
	v_pk_fma_f16 v38, 0xb9fd, v15, v53 op_sel:[0,0,1] op_sel_hi:[0,1,0]
	v_pk_add_f16 v25, v25, v29
	v_add_f16_e32 v24, v101, v24
	v_add_f16_e32 v57, v96, v57
	v_fma_f16 v96, v117, 0xbbc4, -v63
	v_fmac_f16_e32 v63, 0xbbc4, v117
	v_mul_f16_e32 v102, 0x3a95, v59
	v_add_f16_e32 v39, v116, v39
	v_pk_add_f16 v38, v38, v26
	v_pk_fma_f16 v18, 0x388b, v18, v65 op_sel:[0,0,1] op_sel_hi:[0,1,0]
	v_pk_add_f16 v25, v25, v30
	v_add_f16_e32 v24, v107, v24
	v_fma_f16 v107, v117, 0x388b, -v102
	v_add_f16_e32 v42, v120, v42
	v_add_f16_e32 v97, v63, v47
	v_add_f16_e64 v47, v128, v39
	v_pk_add_f16 v38, v18, v38
	v_pk_add_f16 v25, v25, v27
	v_pk_fma_f16 v39, 0xb5ac, v105, v106 op_sel:[0,0,1] op_sel_hi:[0,1,0]
	v_pk_mul_f16 v40, 0x3bf1, v118 op_sel_hi:[0,1]
	v_fmac_f16_e32 v66, 0x2fb7, v105
	v_add_f16_e32 v15, v107, v48
	v_add_f16_e64 v48, v130, v42
	v_pk_add_f16 v42, v25, v28
	v_pk_add_f16 v38, v39, v38
	v_pk_fma_f16 v39, 0x2fb7, v117, v40 op_sel:[0,0,1] op_sel_hi:[0,1,0]
	v_add_f16_e32 v44, v66, v44
	v_mul_f16_e32 v66, 0xb94e, v59
	v_fmac_f16_e32 v102, 0x388b, v117
	v_add_f16_e32 v41, v109, v41
	v_pk_fma_f16 v40, 0x2fb7, v117, v40 op_sel:[0,0,1] op_sel_hi:[0,1,0] neg_lo:[0,0,1] neg_hi:[0,0,1]
	v_pk_add_f16 v42, v42, v31
	v_pk_add_f16 v50, v39, v38
	v_pk_add_f16 v38, v17, v37 neg_lo:[0,1] neg_hi:[0,1]
	v_add_f16_e32 v43, v104, v43
	v_mul_f16_e32 v100, 0x3770, v59
	v_fma_f16 v104, v117, 0xb9fd, -v66
	v_add_f16_e32 v26, v102, v54
	v_add_f16_e32 v102, v121, v41
	v_pk_add_f16 v53, v40, v55
	v_pk_add_f16 v39, v42, v32
	v_mul_lo_u16 v40, v87, 13
	v_lshrrev_b32_e32 v41, 16, v38
	v_add_f16_e32 v45, v111, v45
	v_fmac_f16_e32 v64, 0x388b, v105
	v_fma_f16 v101, v117, 0x3b15, -v100
	v_fmac_f16_e32 v100, 0x3b15, v117
	v_add_f16_e32 v43, v115, v43
	v_add_f16_e32 v14, v104, v103
	v_pk_add_f16 v42, v39, v35
	v_pk_add_f16 v39, v37, v17
	v_and_b32_e32 v17, 0xffff, v40
	v_mul_f16_e32 v40, 0xb770, v41
	v_pk_add_f16 v103, v33, v36 neg_lo:[0,1] neg_hi:[0,1]
	v_fmac_f16_e32 v61, 0x3b15, v105
	v_fmac_f16_e32 v66, 0xb9fd, v117
	v_mul_f16_e32 v59, 0xbb7b, v59
	v_add_f16_e32 v60, v64, v60
	v_add_f16_e32 v110, v123, v45
	v_add_f16_e32 v45, v119, v24
	v_add_f16_e32 v13, v101, v57
	v_add_f16_e32 v24, v100, v44
	v_add_f16_e32 v101, v127, v43
	v_pk_add_f16 v42, v42, v36
	v_pk_mul_f16 v43, 0x3b15388b, v39
	v_fma_f16 v44, v39, 0x3b15, -v40
	v_lshrrev_b32_e32 v104, 16, v103
	v_fma_f16 v64, v117, 0xb5ac, -v59
	v_fmac_f16_e32 v59, 0xb5ac, v117
	v_add_f16_e32 v61, v61, v51
	v_add_f16_e32 v12, v96, v56
	;; [unrolled: 1-line block ×3, first 2 shown]
	v_lshl_add_u32 v105, v17, 2, v95
	v_pk_add_f16 v17, v42, v37
	v_pk_fma_f16 v37, 0xba95b770, v38, v43 op_sel:[0,0,1] op_sel_hi:[1,1,0] neg_lo:[0,1,0] neg_hi:[0,1,0]
	v_pk_fma_f16 v42, 0xba95b770, v38, v43 op_sel:[0,0,1] op_sel_hi:[1,1,0]
	v_fmac_f16_e32 v40, 0x3b15, v39
	v_add_f16_e32 v43, v16, v44
	v_lshrrev_b32_e32 v44, 16, v39
	v_mul_f16_e32 v54, 0xba95, v38
	v_mul_f16_e32 v60, 0xbbf1, v38
	;; [unrolled: 1-line block ×4, first 2 shown]
	v_pk_add_f16 v33, v36, v33
	v_mul_f16_e32 v106, 0xba95, v104
	v_add_f16_e32 v100, v125, v108
	v_add_f16_e32 v18, v64, v58
	v_add_f16_e64 v51, v132, v110
	v_add_f16_e32 v25, v59, v61
	v_add_f16_e32 v40, v16, v40
	v_lshrrev_b32_e32 v57, 16, v16
	v_fmamk_f16 v58, v44, 0x388b, v54
	v_fma_f16 v54, v44, 0x388b, -v54
	v_fmamk_f16 v61, v44, 0x2fb7, v60
	v_fma_f16 v60, v44, 0x2fb7, -v60
	;; [unrolled: 2-line block ×4, first 2 shown]
	v_pk_mul_f16 v96, 0x388bb5ac, v33
	v_fma_f16 v108, v33, 0x388b, -v106
	v_fmac_f16_e32 v106, 0x388b, v33
	v_lshrrev_b32_e32 v109, 16, v33
	v_mul_f16_e32 v110, 0xbb7b, v103
	v_bfi_b32 v55, 0xffff, v42, v37
	v_mul_f16_e32 v56, 0xbbf1, v41
	v_add_f16_e32 v58, v57, v58
	v_pk_add_f16 v42, v16, v42 op_sel:[1,0] op_sel_hi:[0,1]
	v_mul_f16_e32 v62, 0xbb7b, v41
	v_pk_fma_f16 v107, 0xbb7bba95, v103, v96 op_sel:[0,0,1] op_sel_hi:[1,1,0] neg_lo:[0,1,0] neg_hi:[0,1,0]
	v_pk_fma_f16 v96, 0xbb7bba95, v103, v96 op_sel:[0,0,1] op_sel_hi:[1,1,0]
	v_add_f16_e32 v40, v106, v40
	v_fmamk_f16 v106, v109, 0xb5ac, v110
	v_mul_f16_e32 v112, 0xb3a8, v103
	v_pk_add_f16 v55, v16, v55 op_sel:[1,0] op_sel_hi:[0,1]
	v_fma_f16 v59, v39, 0x2fb7, -v56
	v_add_f16_e32 v54, v57, v54
	v_fmac_f16_e32 v56, 0x2fb7, v39
	v_add_f16_e32 v61, v57, v61
	v_fma_f16 v64, v39, 0xb5ac, -v62
	v_fmac_f16_e32 v62, 0xb5ac, v39
	v_bfi_b32 v111, 0xffff, v96, v107
	v_add_f16_e32 v43, v108, v43
	v_mul_f16_e32 v108, 0xb3a8, v104
	v_fma_f16 v110, v109, 0xb5ac, -v110
	v_add_f16_e32 v58, v106, v58
	v_pk_add_f16 v42, v96, v42
	v_fmamk_f16 v96, v109, 0xbbc4, v112
	v_mul_f16_e32 v106, 0x394e, v104
	v_add_f16_e32 v56, v16, v56
	v_mul_f16_e32 v41, 0xb94e, v41
	v_add_f16_e32 v64, v16, v64
	v_add_f16_e32 v62, v16, v62
	v_pk_add_f16 v55, v111, v55
	v_fma_f16 v111, v33, 0xbbc4, -v108
	v_add_f16_e32 v54, v110, v54
	v_fmac_f16_e32 v108, 0xbbc4, v33
	v_mul_f16_e32 v110, 0x394e, v103
	v_add_f16_e32 v61, v96, v61
	v_fma_f16 v96, v33, 0xb9fd, -v106
	v_fmac_f16_e32 v106, 0xb9fd, v33
	v_add_f16_e32 v65, v57, v65
	v_fma_f16 v66, v39, 0xb9fd, -v41
	v_add_f16_e32 v63, v57, v63
	v_add_f16_e32 v56, v108, v56
	v_fmamk_f16 v108, v109, 0xb9fd, v110
	v_mul_f16_e32 v104, 0x3bf1, v104
	v_add_f16_e32 v64, v96, v64
	v_fma_f16 v96, v109, 0xb9fd, -v110
	v_add_f16_e32 v62, v106, v62
	v_mul_f16_e32 v106, 0x3bf1, v103
	v_pk_add_f16 v110, v34, v35 neg_lo:[0,1] neg_hi:[0,1]
	v_add_f16_e32 v66, v16, v66
	v_fmac_f16_e32 v41, 0xb9fd, v39
	v_add_f16_e32 v36, v57, v36
	v_add_f16_e32 v65, v108, v65
	v_fma_f16 v108, v33, 0x2fb7, -v104
	v_add_f16_e32 v63, v96, v63
	v_pk_add_f16 v34, v35, v34
	v_fmamk_f16 v35, v109, 0x2fb7, v106
	v_lshrrev_b32_e32 v96, 16, v110
	v_add_f16_e32 v59, v16, v59
	v_add_f16_e32 v41, v16, v41
	;; [unrolled: 1-line block ×4, first 2 shown]
	v_fmac_f16_e32 v104, 0x2fb7, v33
	v_fma_f16 v106, v109, 0x2fb7, -v106
	v_pk_mul_f16 v108, 0x2fb7bbc4, v34
	v_add_f16_e32 v35, v35, v36
	v_mul_f16_e32 v36, 0xbbf1, v96
	v_add_f16_e32 v60, v57, v60
	v_add_f16_e32 v59, v111, v59
	v_fma_f16 v111, v109, 0xbbc4, -v112
	v_add_f16_e32 v41, v104, v41
	v_add_f16_e32 v44, v106, v44
	v_pk_fma_f16 v104, 0xb3a8bbf1, v110, v108 op_sel:[0,0,1] op_sel_hi:[1,1,0] neg_lo:[0,1,0] neg_hi:[0,1,0]
	v_pk_fma_f16 v106, 0xb3a8bbf1, v110, v108 op_sel:[0,0,1] op_sel_hi:[1,1,0]
	v_fma_f16 v108, v34, 0x2fb7, -v36
	v_add_f16_e32 v60, v111, v60
	v_fmac_f16_e32 v36, 0x2fb7, v34
	v_lshrrev_b32_e32 v109, 16, v34
	v_mul_f16_e32 v111, 0xb3a8, v110
	v_bfi_b32 v112, 0xffff, v106, v104
	v_add_f16_e32 v43, v108, v43
	v_mul_f16_e32 v108, 0x3b7b, v96
	v_add_f16_e32 v36, v36, v40
	v_fmamk_f16 v40, v109, 0xbbc4, v111
	v_pk_add_f16 v55, v112, v55
	v_fma_f16 v111, v109, 0xbbc4, -v111
	v_fma_f16 v112, v34, 0xb5ac, -v108
	v_mul_f16_e32 v113, 0x3b7b, v110
	v_add_f16_e32 v40, v40, v58
	v_pk_add_f16 v42, v106, v42
	v_add_f16_e32 v54, v111, v54
	v_add_f16_e32 v58, v112, v59
	v_fmamk_f16 v59, v109, 0xb5ac, v113
	v_fmac_f16_e32 v108, 0xb5ac, v34
	v_mul_f16_e32 v106, 0x3770, v96
	v_mul_f16_e32 v111, 0x3770, v110
	;; [unrolled: 1-line block ×3, first 2 shown]
	v_add_f16_e32 v59, v59, v61
	v_add_f16_e32 v56, v108, v56
	v_fma_f16 v61, v34, 0x3b15, -v106
	v_fmamk_f16 v108, v109, 0x3b15, v111
	v_fmac_f16_e32 v106, 0x3b15, v34
	v_fma_f16 v112, v109, 0xb5ac, -v113
	v_add_f16_e32 v37, v57, v37
	v_add_f16_e32 v61, v61, v64
	;; [unrolled: 1-line block ×3, first 2 shown]
	v_fma_f16 v65, v109, 0x3b15, -v111
	v_fma_f16 v108, v34, 0x388b, -v96
	v_add_f16_e32 v62, v106, v62
	v_mul_f16_e32 v106, 0xba95, v110
	v_pk_add_f16 v111, v29, v32 neg_lo:[0,1] neg_hi:[0,1]
	v_add_f16_e32 v63, v65, v63
	v_add_f16_e32 v65, v108, v66
	v_pk_add_f16 v29, v32, v29
	v_fmamk_f16 v32, v109, 0x388b, v106
	v_lshrrev_b32_e32 v66, 16, v111
	v_fmac_f16_e32 v96, 0x388b, v34
	v_fma_f16 v106, v109, 0x388b, -v106
	v_pk_mul_f16 v108, 0xb5acb9fd, v29
	v_add_f16_e32 v32, v32, v35
	v_mul_f16_e32 v35, 0xbb7b, v66
	v_add_f16_e32 v41, v96, v41
	v_add_f16_e32 v44, v106, v44
	v_pk_fma_f16 v96, 0x394ebb7b, v111, v108 op_sel:[0,0,1] op_sel_hi:[1,1,0] neg_lo:[0,1,0] neg_hi:[0,1,0]
	v_pk_fma_f16 v106, 0x394ebb7b, v111, v108 op_sel:[0,0,1] op_sel_hi:[1,1,0]
	v_fma_f16 v108, v29, 0xb5ac, -v35
	v_add_f16_e32 v60, v112, v60
	v_lshrrev_b32_e32 v109, 16, v29
	v_mul_f16_e32 v112, 0x394e, v111
	v_fmac_f16_e32 v35, 0xb5ac, v29
	v_bfi_b32 v113, 0xffff, v106, v96
	v_add_f16_e32 v43, v108, v43
	v_mul_f16_e32 v108, 0x3770, v66
	v_fmamk_f16 v114, v109, 0xb9fd, v112
	v_add_f16_e32 v35, v35, v36
	v_pk_add_f16 v36, v113, v55
	v_fma_f16 v55, v109, 0xb9fd, -v112
	v_fma_f16 v112, v29, 0x3b15, -v108
	v_pk_add_f16 v42, v106, v42
	v_mul_f16_e32 v106, 0x3770, v111
	v_fmac_f16_e32 v108, 0x3b15, v29
	v_add_f16_e32 v54, v55, v54
	v_add_f16_e32 v55, v112, v58
	v_mul_f16_e32 v58, 0xbbf1, v66
	v_mul_f16_e32 v112, 0xbbf1, v111
	v_fmamk_f16 v113, v109, 0x3b15, v106
	v_fma_f16 v106, v109, 0x3b15, -v106
	v_add_f16_e32 v40, v114, v40
	v_fma_f16 v114, v29, 0x2fb7, -v58
	v_add_f16_e32 v56, v108, v56
	v_fmac_f16_e32 v58, 0x2fb7, v29
	v_add_f16_e32 v60, v106, v60
	v_fma_f16 v106, v109, 0x2fb7, -v112
	v_mul_f16_e32 v66, 0x33a8, v66
	v_pk_add_f16 v108, v30, v31 neg_lo:[0,1] neg_hi:[0,1]
	v_fmamk_f16 v115, v109, 0x2fb7, v112
	v_mul_f16_e32 v112, 0x33a8, v111
	v_add_f16_e32 v58, v58, v62
	v_add_f16_e32 v62, v106, v63
	v_fma_f16 v63, v29, 0xbbc4, -v66
	v_lshrrev_b32_e32 v106, 16, v108
	v_pk_add_f16 v30, v31, v30
	v_add_f16_e32 v59, v113, v59
	v_fmamk_f16 v113, v109, 0xbbc4, v112
	v_fmac_f16_e32 v66, 0xbbc4, v29
	v_add_f16_e32 v31, v63, v65
	v_mul_f16_e32 v63, 0xb94e, v106
	v_pk_mul_f16 v65, 0xb9fd2fb7, v30
	v_add_f16_e32 v61, v114, v61
	v_add_f16_e32 v32, v113, v32
	;; [unrolled: 1-line block ×3, first 2 shown]
	v_fma_f16 v66, v109, 0xbbc4, -v112
	v_fma_f16 v109, v30, 0xb9fd, -v63
	v_fmac_f16_e32 v63, 0xb9fd, v30
	v_pk_fma_f16 v112, 0x3bf1b94e, v108, v65 op_sel:[0,0,1] op_sel_hi:[1,1,0] neg_lo:[0,1,0] neg_hi:[0,1,0]
	v_pk_fma_f16 v65, 0x3bf1b94e, v108, v65 op_sel:[0,0,1] op_sel_hi:[1,1,0]
	v_lshrrev_b32_e32 v113, 16, v30
	v_mul_f16_e32 v114, 0x3bf1, v108
	v_add_f16_e32 v44, v66, v44
	v_add_f16_e32 v43, v109, v43
	;; [unrolled: 1-line block ×3, first 2 shown]
	v_bfi_b32 v63, 0xffff, v65, v112
	v_fmamk_f16 v66, v113, 0x2fb7, v114
	v_fma_f16 v109, v113, 0x2fb7, -v114
	v_mul_f16_e32 v114, 0xba95, v106
	v_add_f16_e32 v64, v115, v64
	v_mul_f16_e32 v115, 0xba95, v108
	v_pk_add_f16 v36, v63, v36
	v_add_f16_e32 v54, v109, v54
	v_fma_f16 v63, v30, 0x388b, -v114
	v_mul_f16_e32 v109, 0x33a8, v106
	v_add_f16_e32 v40, v66, v40
	v_fmamk_f16 v66, v113, 0x388b, v115
	v_mul_f16_e32 v116, 0x33a8, v108
	v_add_f16_e32 v55, v63, v55
	v_fma_f16 v63, v30, 0xbbc4, -v109
	v_fmac_f16_e32 v109, 0xbbc4, v30
	v_fmac_f16_e32 v114, 0x388b, v30
	v_add_f16_e32 v59, v66, v59
	v_fmamk_f16 v66, v113, 0xbbc4, v116
	v_mul_f16_e32 v106, 0x3770, v106
	v_add_f16_e32 v58, v109, v58
	v_pk_add_f16 v109, v27, v28 neg_lo:[0,1] neg_hi:[0,1]
	v_add_f16_e32 v56, v114, v56
	v_fma_f16 v114, v113, 0x388b, -v115
	v_add_f16_e32 v61, v63, v61
	v_add_f16_e32 v63, v66, v64
	v_fma_f16 v64, v113, 0xbbc4, -v116
	v_mul_f16_e32 v115, 0x3770, v108
	v_lshrrev_b32_e32 v57, 16, v109
	v_fma_f16 v66, v30, 0x3b15, -v106
	v_pk_add_f16 v27, v28, v27
	v_add_f16_e32 v62, v64, v62
	v_fmamk_f16 v64, v113, 0x3b15, v115
	v_add_f16_e32 v28, v107, v37
	v_mul_f16_e32 v37, 0xb3a8, v57
	v_add_f16_e32 v31, v66, v31
	v_mul_f16_e32 v107, 0xb94e, v57
	v_add_f16_e32 v32, v64, v32
	v_fma_f16 v64, v113, 0x3b15, -v115
	v_add_f16_e32 v28, v104, v28
	v_fma_f16 v66, v27, 0xbbc4, -v37
	v_fmac_f16_e32 v37, 0xbbc4, v27
	v_pk_mul_f16 v104, 0xbbc43b15, v27
	v_add_f16_e32 v44, v64, v44
	v_add_f16_e32 v28, v96, v28
	v_add_f16_e32 v43, v66, v43
	v_add_f16_e32 v35, v37, v35
	v_pk_fma_f16 v37, 0x3770b3a8, v109, v104 op_sel:[0,0,1] op_sel_hi:[1,1,0] neg_lo:[0,1,0] neg_hi:[0,1,0]
	v_pk_fma_f16 v64, 0x3770b3a8, v109, v104 op_sel:[0,0,1] op_sel_hi:[1,1,0]
	v_add_f16_e32 v28, v112, v28
	v_lshrrev_b32_e32 v66, 16, v27
	v_mul_f16_e32 v96, 0x3770, v109
	v_pk_mul_f16 v39, 0xbbc4, v39 op_sel_hi:[0,1]
	v_bfi_b32 v64, 0xffff, v64, v37
	v_add_f16_e32 v28, v37, v28
	v_mul_f16_e32 v112, 0xb9fd, v66
	v_fmamk_f16 v37, v66, 0x3b15, v96
	v_fma_f16 v96, v66, 0x3b15, -v96
	v_pk_add_f16 v36, v64, v36
	v_fma_f16 v64, v27, 0xb9fd, -v107
	v_pk_mul_f16 v33, 0x3b15, v33 op_sel_hi:[0,1]
	v_add_f16_e32 v37, v37, v40
	v_add_f16_e32 v40, v96, v54
	v_mul_f16_e32 v54, 0x3a95, v57
	v_add_f16_e32 v55, v64, v55
	v_fmamk_f16 v64, v109, 0xb94e, v112
	v_mul_f16_e32 v96, 0x3a95, v109
	v_mul_f16_e32 v57, 0xbb7b, v57
	v_fma_f16 v113, v27, 0x388b, -v54
	v_fmac_f16_e32 v54, 0x388b, v27
	v_add_f16_e32 v59, v64, v59
	v_fmamk_f16 v64, v66, 0x388b, v96
	v_fma_f16 v96, v66, 0x388b, -v96
	v_pk_mul_f16 v34, 0xb9fd, v34 op_sel_hi:[0,1]
	v_add_f16_e32 v54, v54, v58
	v_pk_mul_f16 v29, 0x388b, v29 op_sel_hi:[0,1]
	v_fmac_f16_e32 v106, 0x3b15, v30
	v_add_f16_e32 v58, v96, v62
	v_fma_f16 v62, v27, 0xb5ac, -v57
	v_pk_fma_f16 v96, 0xb3a8, v38, v39 op_sel:[0,0,1] op_sel_hi:[0,1,0] neg_lo:[0,1,0] neg_hi:[0,1,0]
	v_pk_fma_f16 v38, 0xb3a8, v38, v39 op_sel:[0,0,1] op_sel_hi:[0,1,0]
	v_add_f16_e32 v63, v64, v63
	v_mul_f16_e32 v64, 0xbb7b, v109
	v_add_f16_e32 v31, v62, v31
	v_pk_add_f16 v62, v16, v96 op_sel:[1,0] op_sel_hi:[0,1]
	v_pk_add_f16 v16, v16, v38 op_sel:[1,0] op_sel_hi:[0,1]
	v_pk_fma_f16 v38, 0x3770, v103, v33 op_sel:[0,0,1] op_sel_hi:[0,1,0] neg_lo:[0,1,0] neg_hi:[0,1,0]
	v_pk_fma_f16 v33, 0x3770, v103, v33 op_sel:[0,0,1] op_sel_hi:[0,1,0]
	v_pk_mul_f16 v30, 0xb5ac, v30 op_sel_hi:[0,1]
	v_add_f16_e32 v41, v106, v41
	v_mul_f16_e32 v115, 0xb94e, v109
	v_pk_add_f16 v38, v38, v62
	v_pk_add_f16 v16, v33, v16
	v_pk_fma_f16 v33, 0xb94e, v110, v34 op_sel:[0,0,1] op_sel_hi:[0,1,0] neg_lo:[0,1,0] neg_hi:[0,1,0]
	v_pk_fma_f16 v34, 0xb94e, v110, v34 op_sel:[0,0,1] op_sel_hi:[0,1,0]
	v_fmamk_f16 v39, v66, 0xb5ac, v64
	v_fmac_f16_e32 v57, 0xb5ac, v27
	v_pk_mul_f16 v106, 0x3770b3a8, v109
	v_pk_add_f16 v33, v33, v38
	v_pk_add_f16 v16, v34, v16
	v_pk_fma_f16 v34, 0x3a95, v111, v29 op_sel:[0,0,1] op_sel_hi:[0,1,0] neg_lo:[0,1,0] neg_hi:[0,1,0]
	v_pk_fma_f16 v29, 0x3a95, v111, v29 op_sel:[0,0,1] op_sel_hi:[0,1,0]
	v_fmac_f16_e32 v107, 0xb9fd, v27
	v_add_f16_e32 v32, v39, v32
	v_add_f16_e32 v39, v57, v41
	v_pk_add_f16 v33, v34, v33
	v_pk_fma_f16 v34, 0xbb7b, v108, v30 op_sel:[0,0,1] op_sel_hi:[0,1,0] neg_lo:[0,1,0] neg_hi:[0,1,0]
	v_fma_f16 v41, v66, 0xb5ac, -v64
	v_pk_add_f16 v16, v29, v16
	v_pk_fma_f16 v29, 0xbb7b, v108, v30 op_sel:[0,0,1] op_sel_hi:[0,1,0]
	v_pk_mul_f16 v27, 0x2fb7, v27 op_sel_hi:[0,1]
	v_pk_add_f16 v33, v34, v33
	v_bfi_b32 v34, 0xffff, v115, v42
	v_add_f16_e32 v38, v41, v44
	v_alignbit_b32 v37, v37, v36, 16
	v_pack_b32_f16 v30, v43, v36
	v_pk_add_f16 v16, v29, v16
	v_pk_fma_f16 v29, 0x3bf1, v109, v27 op_sel:[0,0,1] op_sel_hi:[0,1,0] neg_lo:[0,1,0] neg_hi:[0,1,0]
	v_pack_b32_f16 v36, v114, v104
	v_bfi_b32 v41, 0xffff, v60, v106
	v_pk_add_f16 v34, v112, v34 neg_lo:[0,1] neg_hi:[0,1]
	v_pk_add_f16 v42, v65, v42
	v_pk_fma_f16 v27, 0x3bf1, v109, v27 op_sel:[0,0,1] op_sel_hi:[0,1,0]
	v_pack_b32_f16 v31, v31, v32
	v_pk_add_f16 v29, v29, v33
	v_pk_add_f16 v32, v36, v41
	v_bfi_b32 v33, 0xffff, v34, v42
	v_add_f16_e32 v61, v113, v61
	v_pk_add_f16 v16, v27, v16
	global_wb scope:SCOPE_SE
	s_wait_kmcnt 0x0
	s_barrier_signal -1
	s_barrier_wait -1
	global_inv scope:SCOPE_SE
	v_add_f16_e32 v56, v107, v56
	ds_store_2addr_b32 v105, v17, v31 offset1:5
	v_pk_add_f16 v17, v33, v32
	v_pack_b32_f16 v28, v35, v28
	v_mul_u32_u24_e32 v35, 13, v49
	v_pack_b32_f16 v27, v61, v63
	v_pack_b32_f16 v34, v55, v59
	v_alignbit_b32 v31, v29, v16, 16
	v_alignbit_b32 v16, v16, v29, 16
	v_pack_b32_f16 v29, v54, v58
	v_pack_b32_f16 v32, v39, v38
	v_alignbit_b32 v33, v40, v17, 16
	v_pack_b32_f16 v17, v56, v17
	scratch_store_b32 off, v35, off offset:4 ; 4-byte Folded Spill
	ds_store_2addr_b32 v105, v30, v37 offset0:1 offset1:2
	ds_store_2addr_b32 v105, v34, v27 offset0:3 offset1:4
	;; [unrolled: 1-line block ×5, first 2 shown]
	ds_store_b32 v105, v28 offset:48
	s_and_saveexec_b32 s0, vcc_lo
	s_cbranch_execz .LBB0_7
; %bb.6:
	v_pk_add_f16 v0, v1, v0
	v_mul_u32_u24_e32 v1, 13, v49
	v_perm_b32 v16, v100, v23, 0x5040100
	v_perm_b32 v17, v98, v97, 0x5040100
	s_delay_alu instid0(VALU_DEP_4) | instskip(NEXT) | instid1(VALU_DEP_4)
	v_pk_add_f16 v0, v10, v0
	v_lshl_add_u32 v1, v1, 2, v95
	v_perm_b32 v10, v102, v25, 0x5040100
	s_delay_alu instid0(VALU_DEP_3) | instskip(SKIP_1) | instid1(VALU_DEP_2)
	v_pk_add_f16 v0, v11, v0
	v_perm_b32 v11, v99, v24, 0x5040100
	v_pk_add_f16 v0, v8, v0
	v_bfi_b32 v8, 0xffff, v53, v50
	s_delay_alu instid0(VALU_DEP_2) | instskip(SKIP_1) | instid1(VALU_DEP_2)
	v_pk_add_f16 v0, v9, v0
	v_perm_b32 v9, v101, v26, 0x5040100
	v_pk_add_f16 v0, v4, v0
	v_perm_b32 v4, v47, v14, 0x5040100
	s_delay_alu instid0(VALU_DEP_2) | instskip(SKIP_1) | instid1(VALU_DEP_2)
	v_pk_add_f16 v0, v5, v0
	v_perm_b32 v5, v46, v13, 0x5040100
	v_pk_add_f16 v0, v6, v0
	v_perm_b32 v6, v51, v18, 0x5040100
	s_delay_alu instid0(VALU_DEP_2) | instskip(SKIP_1) | instid1(VALU_DEP_2)
	v_pk_add_f16 v0, v7, v0
	v_bfi_b32 v7, 0xffff, v50, v53
	v_pk_add_f16 v0, v2, v0
	v_perm_b32 v2, v45, v12, 0x5040100
	s_delay_alu instid0(VALU_DEP_2) | instskip(SKIP_1) | instid1(VALU_DEP_2)
	v_pk_add_f16 v0, v3, v0
	v_perm_b32 v3, v48, v15, 0x5040100
	v_pk_add_f16 v0, v19, v0
	ds_store_2addr_b32 v1, v0, v2 offset1:1
	ds_store_2addr_b32 v1, v5, v4 offset0:2 offset1:3
	ds_store_2addr_b32 v1, v3, v6 offset0:4 offset1:5
	;; [unrolled: 1-line block ×5, first 2 shown]
	ds_store_b32 v1, v17 offset:48
.LBB0_7:
	s_wait_alu 0xfffe
	s_or_b32 exec_lo, exec_lo, s0
	v_add_nc_u32_e32 v2, 0x400, v67
	v_add_nc_u32_e32 v0, 0x200, v67
	;; [unrolled: 1-line block ×6, first 2 shown]
	global_wb scope:SCOPE_SE
	s_wait_storecnt_dscnt 0x0
	s_barrier_signal -1
	s_barrier_wait -1
	global_inv scope:SCOPE_SE
	ds_load_2addr_b32 v[16:17], v67 offset1:91
	ds_load_2addr_b32 v[33:34], v0 offset0:67 offset1:158
	ds_load_2addr_b32 v[43:44], v2 offset0:134 offset1:225
	ds_load_2addr_b32 v[41:42], v1 offset0:73 offset1:164
	ds_load_2addr_b32 v[39:40], v3 offset0:12 offset1:103
	ds_load_2addr_b32 v[37:38], v4 offset0:79 offset1:170
	ds_load_2addr_b32 v[35:36], v5 offset0:146 offset1:237
	v_cmp_gt_u16_e64 s0, 13, v87
	v_lshrrev_b32_e32 v54, 16, v50
	s_delay_alu instid0(VALU_DEP_2)
	s_and_saveexec_b32 s1, s0
	s_cbranch_execz .LBB0_9
; %bb.8:
	v_add_nc_u32_e32 v2, 0xf00, v67
	ds_load_2addr_b32 v[12:13], v0 offset0:54 offset1:249
	ds_load_2addr_b32 v[14:15], v1 offset0:60 offset1:255
	ds_load_2addr_b32 v[18:19], v2 offset0:2 offset1:197
	ds_load_b32 v50, v67 offset:5408
	s_wait_dscnt 0x3
	v_lshrrev_b32_e32 v45, 16, v12
	v_lshrrev_b32_e32 v46, 16, v13
	s_wait_dscnt 0x2
	v_lshrrev_b32_e32 v47, 16, v14
	v_lshrrev_b32_e32 v48, 16, v15
	;; [unrolled: 3-line block ×3, first 2 shown]
	s_wait_dscnt 0x0
	v_bfi_b32 v53, 0xffff, v19, v50
.LBB0_9:
	s_wait_alu 0xfffe
	s_or_b32 exec_lo, exec_lo, s1
	v_and_b32_e32 v0, 0xff, v87
	v_and_b32_e32 v1, 0xff, v49
	v_add_co_u32 v57, null, 0xb6, v87
	s_wait_dscnt 0x5
	v_lshrrev_b32_e32 v62, 16, v33
	v_mul_lo_u16 v0, 0x4f, v0
	s_wait_dscnt 0x4
	v_lshrrev_b32_e32 v63, 16, v43
	v_and_b32_e32 v19, 0xffff, v57
	s_wait_dscnt 0x3
	v_lshrrev_b32_e32 v64, 16, v41
	s_wait_dscnt 0x2
	v_lshrrev_b32_e32 v65, 16, v39
	v_lshrrev_b16 v56, 10, v0
	v_mul_lo_u16 v0, 0x4f, v1
	v_mul_u32_u24_e32 v2, 0x4ec5, v19
	s_wait_dscnt 0x1
	v_lshrrev_b32_e32 v66, 16, v37
	s_wait_dscnt 0x0
	v_lshrrev_b32_e32 v96, 16, v35
	v_mul_lo_u16 v1, v56, 13
	v_lshrrev_b16 v58, 10, v0
	v_and_b32_e32 v56, 0xffff, v56
	v_lshrrev_b32_e32 v127, 16, v34
	v_lshrrev_b32_e32 v128, 16, v44
	v_sub_nc_u16 v0, v87, v1
	v_mul_lo_u16 v1, v58, 13
	v_and_b32_e32 v58, 0xffff, v58
	v_mul_u32_u24_e32 v56, 0x5b, v56
	v_lshrrev_b32_e32 v129, 16, v42
	v_and_b32_e32 v59, 0xff, v0
	v_sub_nc_u16 v0, v49, v1
	v_mul_u32_u24_e32 v58, 0x5b, v58
	v_lshrrev_b32_e32 v130, 16, v40
	v_lshrrev_b32_e32 v131, 16, v38
	v_mul_u32_u24_e32 v1, 6, v59
	v_and_b32_e32 v60, 0xff, v0
	v_add_nc_u32_e32 v56, v56, v59
	v_lshrrev_b32_e32 v59, 16, v36
	v_lshrrev_b32_e32 v55, 16, v16
	v_lshlrev_b32_e32 v0, 2, v1
	v_mul_u32_u24_e32 v1, 6, v60
	v_add_nc_u32_e32 v58, v58, v60
	v_lshrrev_b32_e32 v60, 16, v53
	v_lshl_add_u32 v112, v56, 2, v95
	s_clause 0x1
	global_load_b128 v[8:11], v0, s[2:3]
	global_load_b64 v[31:32], v0, s[2:3] offset:16
	v_lshrrev_b32_e32 v0, 18, v2
	v_lshlrev_b32_e32 v1, 2, v1
	v_lshl_add_u32 v111, v58, 2, v95
	s_clause 0x1
	global_load_b128 v[4:7], v1, s[2:3]
	global_load_b64 v[29:30], v1, s[2:3] offset:16
	v_mul_lo_u16 v0, v0, 13
	v_lshrrev_b32_e32 v114, 16, v17
	s_delay_alu instid0(VALU_DEP_2) | instskip(NEXT) | instid1(VALU_DEP_1)
	v_sub_nc_u16 v61, v57, v0
	v_mul_lo_u16 v0, v61, 6
	v_and_b32_e32 v61, 0xffff, v61
	s_delay_alu instid0(VALU_DEP_2) | instskip(NEXT) | instid1(VALU_DEP_1)
	v_and_b32_e32 v0, 0xffff, v0
	v_lshlrev_b32_e32 v27, 2, v0
	s_clause 0x1
	global_load_b128 v[0:3], v27, s[2:3]
	global_load_b64 v[27:28], v27, s[2:3] offset:16
	scratch_store_b32 off, v61, off         ; 4-byte Folded Spill
	global_wb scope:SCOPE_SE
	s_wait_loadcnt 0x0
	s_wait_storecnt 0x0
	s_barrier_signal -1
	s_barrier_wait -1
	global_inv scope:SCOPE_SE
	v_lshrrev_b32_e32 v126, 16, v8
	v_lshrrev_b32_e32 v125, 16, v9
	;; [unrolled: 1-line block ×6, first 2 shown]
	v_mul_f16_e32 v56, v62, v126
	v_lshrrev_b32_e32 v120, 16, v4
	v_lshrrev_b32_e32 v119, 16, v5
	;; [unrolled: 1-line block ×6, first 2 shown]
	v_mul_f16_e32 v58, v33, v126
	v_mul_f16_e32 v61, v63, v125
	v_mul_f16_e64 v132, v43, v125
	v_mul_f16_e64 v133, v64, v124
	;; [unrolled: 1-line block ×21, first 2 shown]
	v_lshrrev_b32_e32 v110, 16, v0
	v_lshrrev_b32_e32 v108, 16, v1
	;; [unrolled: 1-line block ×6, first 2 shown]
	v_fma_f16 v33, v33, v8, -v56
	v_fmac_f16_e32 v58, v62, v8
	v_fma_f16 v43, v43, v9, -v61
	v_fmac_f16_e64 v132, v63, v9
	v_fma_f16 v41, v41, v10, -v133
	v_fmac_f16_e64 v134, v64, v10
	;; [unrolled: 2-line block ×11, first 2 shown]
	v_mul_f16_e32 v56, v46, v110
	v_mul_f16_e32 v59, v13, v110
	;; [unrolled: 1-line block ×10, first 2 shown]
	v_mul_f16_e64 v128, v60, v113
	v_mul_f16_e64 v129, v50, v113
	v_fma_f16 v13, v13, v0, -v56
	v_fmac_f16_e32 v59, v46, v0
	v_fma_f16 v14, v14, v1, -v61
	v_fmac_f16_e32 v62, v47, v1
	;; [unrolled: 2-line block ×5, first 2 shown]
	v_fma_f16 v47, v50, v28, -v128
	v_fmac_f16_e64 v129, v60, v28
	v_add_f16_e32 v48, v33, v35
	v_add_f16_e64 v50, v58, v140
	v_sub_f16_e32 v33, v33, v35
	v_sub_f16_e64 v35, v58, v140
	v_add_f16_e32 v51, v43, v37
	v_add_f16_e64 v53, v132, v138
	v_sub_f16_e32 v37, v43, v37
	v_sub_f16_e64 v43, v132, v138
	;; [unrolled: 4-line block ×3, first 2 shown]
	v_add_f16_e32 v58, v34, v36
	v_add_f16_e64 v60, v142, v152
	v_add_f16_e32 v61, v44, v38
	v_add_f16_e64 v63, v144, v150
	v_sub_f16_e32 v38, v44, v38
	v_sub_f16_e64 v44, v144, v150
	v_add_f16_e32 v65, v42, v40
	v_sub_f16_e32 v40, v40, v42
	v_sub_f16_e64 v42, v148, v146
	v_sub_f16_e32 v34, v34, v36
	v_sub_f16_e64 v36, v142, v152
	v_add_f16_e64 v96, v146, v148
	v_add_f16_e64 v128, v51, v48
	;; [unrolled: 1-line block ×3, first 2 shown]
	v_sub_f16_e64 v131, v51, v48
	v_sub_f16_e64 v132, v53, v50
	v_sub_f16_e32 v48, v48, v54
	v_sub_f16_e32 v50, v50, v56
	;; [unrolled: 1-line block ×4, first 2 shown]
	v_add_f16_e64 v133, v39, v37
	v_add_f16_e64 v134, v41, v43
	v_sub_f16_e64 v135, v39, v37
	v_sub_f16_e64 v136, v41, v43
	v_sub_f16_e32 v37, v37, v33
	v_sub_f16_e32 v43, v43, v35
	v_add_f16_e64 v137, v61, v58
	v_add_f16_e64 v138, v63, v60
	v_sub_f16_e64 v143, v40, v38
	v_sub_f16_e64 v144, v42, v44
	v_add_f16_e64 v145, v13, v47
	v_add_f16_e64 v146, v59, v129
	v_sub_f16_e32 v13, v13, v47
	v_sub_f16_e64 v47, v59, v129
	v_add_f16_e32 v59, v14, v46
	v_add_f16_e64 v129, v62, v127
	v_sub_f16_e32 v39, v33, v39
	v_sub_f16_e32 v41, v35, v41
	v_sub_f16_e64 v139, v61, v58
	v_sub_f16_e64 v140, v63, v60
	v_sub_f16_e32 v58, v58, v65
	v_sub_f16_e32 v60, v60, v96
	;; [unrolled: 1-line block ×4, first 2 shown]
	v_add_f16_e64 v141, v40, v38
	v_add_f16_e64 v142, v42, v44
	v_sub_f16_e32 v38, v38, v34
	v_sub_f16_e32 v44, v44, v36
	v_sub_f16_e32 v14, v14, v46
	v_sub_f16_e32 v46, v62, v127
	v_add_f16_e32 v62, v15, v18
	v_add_f16_e32 v127, v64, v66
	v_sub_f16_e32 v15, v18, v15
	v_sub_f16_e32 v18, v66, v64
	v_add_f16_e64 v54, v54, v128
	v_add_f16_e64 v56, v56, v130
	;; [unrolled: 1-line block ×4, first 2 shown]
	v_mul_f16_e32 v48, 0x3a52, v48
	v_mul_f16_e32 v50, 0x3a52, v50
	;; [unrolled: 1-line block ×4, first 2 shown]
	v_mul_f16_e64 v128, 0xb846, v135
	v_mul_f16_e64 v130, 0xb846, v136
	;; [unrolled: 1-line block ×4, first 2 shown]
	v_add_f16_e64 v65, v65, v137
	v_add_f16_e64 v96, v96, v138
	v_mul_f16_e64 v137, 0xb846, v143
	v_mul_f16_e64 v138, 0xb846, v144
	v_add_f16_e64 v143, v59, v145
	v_add_f16_e64 v144, v129, v146
	v_sub_f16_e32 v40, v34, v40
	v_sub_f16_e32 v42, v36, v42
	v_add_f16_e64 v34, v141, v34
	v_add_f16_e64 v36, v142, v36
	v_mul_f16_e32 v58, 0x3a52, v58
	v_mul_f16_e32 v60, 0x3a52, v60
	v_mul_f16_e64 v135, 0x2b26, v61
	v_mul_f16_e64 v136, 0x2b26, v63
	;; [unrolled: 1-line block ×4, first 2 shown]
	v_sub_f16_e64 v147, v59, v145
	v_sub_f16_e64 v148, v129, v146
	;; [unrolled: 1-line block ×4, first 2 shown]
	v_sub_f16_e32 v59, v62, v59
	v_sub_f16_e64 v129, v127, v129
	v_add_f16_e64 v149, v15, v14
	v_add_f16_e64 v150, v18, v46
	v_sub_f16_e64 v151, v15, v14
	v_sub_f16_e64 v152, v18, v46
	v_sub_f16_e32 v14, v14, v13
	v_sub_f16_e32 v46, v46, v47
	v_add_f16_e32 v16, v16, v54
	v_add_f16_e32 v55, v55, v56
	v_fmamk_f16 v51, v51, 0x2b26, v48
	v_fmamk_f16 v53, v53, 0x2b26, v50
	v_fma_f16 v64, v131, 0x39e0, -v64
	v_fma_f16 v66, v132, 0x39e0, -v66
	;; [unrolled: 1-line block ×4, first 2 shown]
	v_fma_f16 v131, 0x3574, v39, v128
	v_fma_f16 v132, 0x3574, v41, v130
	v_fma_f16 v37, v37, 0x3b00, -v128
	v_fma_f16 v43, v43, 0x3b00, -v130
	;; [unrolled: 1-line block ×4, first 2 shown]
	v_add_f16_e32 v17, v17, v65
	v_add_f16_e32 v114, v114, v96
	v_add_f16_e64 v62, v62, v143
	v_add_f16_e64 v127, v127, v144
	v_sub_f16_e32 v15, v13, v15
	v_sub_f16_e32 v18, v47, v18
	v_fmamk_f16 v61, v61, 0x2b26, v58
	v_fmamk_f16 v63, v63, 0x2b26, v60
	v_fma_f16 v128, v139, 0x39e0, -v135
	v_fma_f16 v130, v140, 0x39e0, -v136
	;; [unrolled: 1-line block ×4, first 2 shown]
	v_fma_f16 v133, 0x3574, v40, v137
	v_fma_f16 v134, 0x3574, v42, v138
	v_fma_f16 v38, v38, 0x3b00, -v137
	v_fma_f16 v44, v44, 0x3b00, -v138
	;; [unrolled: 1-line block ×4, first 2 shown]
	v_add_f16_e64 v135, v149, v13
	v_mul_f16_e64 v136, 0x3a52, v145
	v_mul_f16_e64 v137, 0x3a52, v146
	;; [unrolled: 1-line block ×8, first 2 shown]
	v_fmamk_f16 v54, v54, 0xbcab, v16
	v_fmamk_f16 v56, v56, 0xbcab, v55
	v_fmac_f16_e64 v131, 0x370e, v33
	v_fmac_f16_e64 v132, 0x370e, v35
	v_fmac_f16_e32 v37, 0x370e, v33
	v_fmac_f16_e32 v43, 0x370e, v35
	;; [unrolled: 1-line block ×4, first 2 shown]
	v_fmamk_f16 v33, v65, 0xbcab, v17
	v_fmamk_f16 v35, v96, 0xbcab, v114
	v_add_f16_e32 v12, v12, v62
	v_add_f16_e32 v13, v45, v127
	v_add_f16_e64 v47, v150, v47
	v_fmac_f16_e64 v133, 0x370e, v34
	v_fmac_f16_e64 v134, 0x370e, v36
	v_fmac_f16_e32 v38, 0x370e, v34
	v_fmac_f16_e32 v44, 0x370e, v36
	;; [unrolled: 1-line block ×4, first 2 shown]
	v_fma_f16 v34, 0x2b26, v59, v136
	v_fma_f16 v36, 0x2b26, v129, v137
	v_fma_f16 v45, v147, 0x39e0, -v138
	v_fma_f16 v59, v148, 0x39e0, -v139
	;; [unrolled: 1-line block ×4, first 2 shown]
	v_fma_f16 v129, 0x3574, v15, v140
	v_fma_f16 v136, 0x3574, v18, v141
	v_fma_f16 v14, v14, 0x3b00, -v140
	v_fma_f16 v46, v46, 0x3b00, -v141
	;; [unrolled: 1-line block ×4, first 2 shown]
	v_pack_b32_f16 v16, v16, v55
	v_add_f16_e32 v51, v51, v54
	v_add_f16_e32 v53, v53, v56
	;; [unrolled: 1-line block ×8, first 2 shown]
	v_add_f16_e64 v61, v128, v33
	v_add_f16_e64 v63, v130, v35
	v_add_f16_e32 v33, v58, v33
	v_add_f16_e32 v35, v60, v35
	v_fmamk_f16 v58, v62, 0xbcab, v12
	v_fmamk_f16 v60, v127, 0xbcab, v13
	v_fmac_f16_e64 v129, 0x370e, v135
	v_fmac_f16_e64 v136, 0x370e, v47
	;; [unrolled: 1-line block ×3, first 2 shown]
	v_fmac_f16_e32 v46, 0x370e, v47
	v_fmac_f16_e64 v15, 0x370e, v135
	v_fmac_f16_e32 v18, 0x370e, v47
	v_add_f16_e64 v62, v132, v51
	v_sub_f16_e64 v66, v53, v131
	v_sub_f16_e32 v127, v50, v39
	v_sub_f16_e64 v128, v55, v43
	v_add_f16_e64 v130, v37, v64
	v_add_f16_e32 v55, v43, v55
	v_sub_f16_e32 v37, v64, v37
	v_add_f16_e32 v39, v39, v50
	v_sub_f16_e64 v50, v51, v132
	v_add_f16_e64 v51, v131, v53
	v_add_f16_e64 v53, v134, v54
	v_sub_f16_e64 v64, v56, v133
	v_add_f16_e64 v131, v42, v33
	v_sub_f16_e64 v132, v35, v40
	v_sub_f16_e64 v135, v61, v44
	v_add_f16_e32 v61, v44, v61
	v_sub_f16_e32 v33, v33, v42
	v_add_f16_e32 v35, v40, v35
	v_sub_f16_e64 v40, v54, v134
	v_add_f16_e64 v42, v133, v56
	v_add_f16_e32 v34, v34, v58
	v_add_f16_e32 v36, v36, v60
	;; [unrolled: 1-line block ×6, first 2 shown]
	v_pack_b32_f16 v17, v17, v114
	v_add_f16_e32 v114, v41, v48
	v_sub_f16_e32 v41, v48, v41
	v_add_f16_e64 v137, v38, v63
	v_sub_f16_e32 v38, v63, v38
	v_add_f16_e64 v47, v136, v34
	v_sub_f16_e64 v145, v36, v129
	v_add_f16_e32 v48, v18, v44
	v_sub_f16_e64 v146, v54, v15
	v_sub_f16_e32 v45, v43, v46
	v_add_f16_e64 v150, v14, v56
	v_add_f16_e32 v46, v46, v43
	v_sub_f16_e64 v149, v56, v14
	v_sub_f16_e32 v43, v44, v18
	v_add_f16_e64 v148, v15, v54
	v_sub_f16_e64 v44, v34, v136
	v_add_f16_e64 v147, v129, v36
	v_pack_b32_f16 v14, v62, v66
	v_pack_b32_f16 v15, v114, v127
	;; [unrolled: 1-line block ×12, first 2 shown]
	ds_store_2addr_b32 v112, v16, v14 offset1:13
	ds_store_2addr_b32 v112, v15, v18 offset0:26 offset1:39
	ds_store_2addr_b32 v112, v34, v36 offset0:52 offset1:65
	ds_store_b32 v112, v37 offset:312
	ds_store_2addr_b32 v111, v17, v39 offset1:13
	ds_store_2addr_b32 v111, v41, v50 offset0:26 offset1:39
	ds_store_2addr_b32 v111, v38, v33 offset0:52 offset1:65
	ds_store_b32 v111, v35 offset:312
	s_and_saveexec_b32 s1, s0
	s_cbranch_execz .LBB0_11
; %bb.10:
	scratch_load_b32 v14, off, off          ; 4-byte Folded Reload
	v_perm_b32 v12, v13, v12, 0x5040100
	v_perm_b32 v13, v145, v47, 0x5040100
	v_perm_b32 v15, v146, v48, 0x5040100
	v_perm_b32 v16, v150, v45, 0x5040100
	v_perm_b32 v33, v149, v46, 0x5040100
	v_perm_b32 v34, v148, v43, 0x5040100
	v_perm_b32 v35, v147, v44, 0x5040100
	s_wait_loadcnt 0x0
	v_lshl_add_u32 v14, v14, 2, v95
	s_delay_alu instid0(VALU_DEP_1)
	v_add_nc_u32_e32 v17, 0x1200, v14
	v_add_nc_u32_e32 v18, 0x1400, v14
	ds_store_2addr_b32 v17, v12, v13 offset0:122 offset1:135
	ds_store_2addr_b32 v18, v15, v16 offset0:20 offset1:33
	;; [unrolled: 1-line block ×3, first 2 shown]
	ds_store_b32 v14, v35 offset:5408
.LBB0_11:
	s_wait_alu 0xfffe
	s_or_b32 exec_lo, exec_lo, s1
	v_mul_u32_u24_e32 v16, 0x6817, v19
	v_lshlrev_b32_e32 v64, 4, v87
	global_wb scope:SCOPE_SE
	s_wait_dscnt 0x0
	s_barrier_signal -1
	s_barrier_wait -1
	v_lshrrev_b32_e32 v16, 16, v16
	global_inv scope:SCOPE_SE
	global_load_b128 v[12:15], v64, s[2:3] offset:312
	v_add_nc_u32_e32 v56, 0x400, v67
	v_add_nc_u32_e32 v61, 0xc00, v67
	v_sub_nc_u16 v17, v57, v16
	v_add_nc_u32_e32 v55, 0x200, v67
	v_add_nc_u32_e32 v53, 0x800, v67
	;; [unrolled: 1-line block ×4, first 2 shown]
	v_lshrrev_b16 v17, 1, v17
	ds_load_2addr_b32 v[39:40], v67 offset1:91
	v_lshlrev_b32_e32 v41, 3, v87
	v_lshlrev_b32_e32 v49, 3, v49
	v_add_nc_u16 v16, v17, v16
	s_delay_alu instid0(VALU_DEP_1) | instskip(NEXT) | instid1(VALU_DEP_1)
	v_lshrrev_b16 v16, 6, v16
	v_mul_lo_u16 v16, 0x5b, v16
	s_delay_alu instid0(VALU_DEP_1)
	v_sub_nc_u16 v66, v57, v16
	s_wait_dscnt 0x0
	v_lshrrev_b32_e32 v96, 16, v39
	v_lshrrev_b32_e32 v127, 16, v40
	v_lshlrev_b32_e32 v57, 3, v57
	v_lshlrev_b16 v16, 4, v66
	v_and_b32_e32 v66, 0xffff, v66
	s_delay_alu instid0(VALU_DEP_2) | instskip(NEXT) | instid1(VALU_DEP_2)
	v_and_b32_e32 v16, 0xffff, v16
	v_lshl_add_u32 v114, v66, 2, v95
	s_delay_alu instid0(VALU_DEP_2) | instskip(SKIP_2) | instid1(VALU_DEP_3)
	v_add_co_u32 v16, s1, s2, v16
	s_wait_alu 0xf1ff
	v_add_co_ci_u32_e64 v17, null, s3, 0, s1
	v_add_nc_u32_e32 v154, 0xc00, v114
	v_add_nc_u32_e32 v155, 0x1000, v114
	global_load_b128 v[16:19], v[16:17], off offset:312
	ds_load_b32 v42, v67 offset:5096
	ds_load_2addr_b32 v[33:34], v55 offset0:54 offset1:145
	ds_load_2addr_b32 v[50:51], v53 offset0:34 offset1:125
	;; [unrolled: 1-line block ×6, first 2 shown]
	global_wb scope:SCOPE_SE
	s_wait_loadcnt_dscnt 0x0
	s_barrier_signal -1
	s_barrier_wait -1
	global_inv scope:SCOPE_SE
	v_add_co_u32 v64, s1, s2, v64
	s_wait_alu 0xf1ff
	v_add_co_ci_u32_e64 v65, null, s3, 0, s1
	s_delay_alu instid0(VALU_DEP_2) | instskip(SKIP_1) | instid1(VALU_DEP_2)
	v_sub_co_u32 v64, s1, v64, v41
	s_wait_alu 0xf1ff
	v_subrev_co_ci_u32_e64 v65, s1, 0, v65, s1
	v_lshrrev_b32_e32 v128, 16, v42
	v_lshrrev_b32_e32 v129, 16, v34
	;; [unrolled: 1-line block ×17, first 2 shown]
	s_delay_alu instid0(VALU_DEP_4)
	v_mul_f16_e64 v141, v129, v140
	v_mul_f16_e64 v142, v34, v140
	;; [unrolled: 1-line block ×16, first 2 shown]
	v_fma_f16 v34, v34, v12, -v141
	v_fmac_f16_e64 v142, v129, v12
	v_fma_f16 v50, v50, v13, -v143
	v_fmac_f16_e64 v144, v130, v13
	;; [unrolled: 2-line block ×8, first 2 shown]
	v_add_f16_e64 v129, v39, v34
	v_add_f16_e64 v130, v50, v36
	v_sub_f16_e64 v131, v142, v159
	v_sub_f16_e64 v133, v34, v50
	;; [unrolled: 1-line block ×3, first 2 shown]
	v_add_f16_e64 v135, v34, v59
	v_sub_f16_e64 v136, v50, v34
	v_sub_f16_e64 v141, v36, v59
	v_add_f16_e64 v143, v96, v142
	v_add_f16_e64 v156, v144, v157
	v_sub_f16_e64 v160, v142, v144
	v_sub_f16_e64 v162, v159, v157
	v_add_f16_e64 v164, v142, v159
	v_sub_f16_e64 v142, v144, v142
	v_sub_f16_e64 v166, v157, v159
	v_add_f16_e64 v168, v40, v37
	v_add_f16_e64 v169, v51, v62
	;; [unrolled: 1-line block ×4, first 2 shown]
	v_sub_f16_e32 v34, v34, v59
	v_sub_f16_e64 v158, v50, v36
	v_sub_f16_e64 v170, v161, v167
	;; [unrolled: 1-line block ×3, first 2 shown]
	v_add_f16_e64 v174, v37, v60
	v_sub_f16_e64 v175, v51, v37
	v_sub_f16_e32 v37, v37, v60
	v_sub_f16_e64 v179, v51, v62
	v_add_f16_e64 v50, v129, v50
	v_fma_f16 v129, -0.5, v130, v39
	v_add_f16_e64 v130, v133, v134
	v_fma_f16 v39, -0.5, v135, v39
	v_add_f16_e64 v133, v136, v141
	v_add_f16_e64 v134, v143, v144
	v_fma_f16 v135, -0.5, v156, v96
	v_add_f16_e64 v136, v160, v162
	v_add_f16_e64 v141, v142, v166
	;; [unrolled: 1-line block ×3, first 2 shown]
	v_fma_f16 v142, -0.5, v169, v40
	v_add_f16_e64 v156, v177, v163
	v_fma_f16 v160, -0.5, v178, v127
	v_sub_f16_e64 v132, v144, v157
	v_add_f16_e64 v182, v161, v167
	v_fmac_f16_e64 v96, -0.5, v164
	v_sub_f16_e64 v171, v163, v165
	v_sub_f16_e64 v173, v60, v62
	v_sub_f16_e64 v176, v62, v60
	v_sub_f16_e64 v180, v161, v163
	v_sub_f16_e64 v181, v167, v165
	v_sub_f16_e64 v183, v165, v167
	v_fmac_f16_e64 v40, -0.5, v174
	v_add_f16_e32 v36, v50, v36
	v_fma_f16 v50, 0x3b9c, v131, v129
	v_fmac_f16_e64 v129, 0xbb9c, v131
	v_add_f16_e64 v134, v134, v157
	v_fma_f16 v157, 0xbb9c, v34, v135
	v_fmac_f16_e64 v135, 0x3b9c, v34
	v_add_f16_e32 v51, v51, v62
	v_fma_f16 v62, 0x3b9c, v170, v142
	v_fmac_f16_e64 v142, 0xbb9c, v170
	v_add_f16_e64 v156, v156, v165
	v_fma_f16 v165, 0xbb9c, v37, v160
	v_fmac_f16_e64 v160, 0x3b9c, v37
	v_sub_f16_e64 v161, v163, v161
	v_fmac_f16_e64 v127, -0.5, v182
	v_fma_f16 v163, 0xbb9c, v132, v39
	v_fmac_f16_e64 v39, 0x3b9c, v132
	v_fma_f16 v164, 0x3b9c, v158, v96
	v_fmac_f16_e64 v96, 0xbb9c, v158
	v_add_f16_e64 v143, v172, v173
	v_add_f16_e64 v162, v180, v181
	v_fma_f16 v166, 0xbb9c, v171, v40
	v_fmac_f16_e64 v40, 0x3b9c, v171
	v_fmac_f16_e64 v50, 0x38b4, v132
	;; [unrolled: 1-line block ×9, first 2 shown]
	v_fma_f16 v168, 0x3b9c, v179, v127
	v_fmac_f16_e64 v127, 0xbb9c, v179
	v_fmac_f16_e64 v163, 0x38b4, v131
	;; [unrolled: 1-line block ×4, first 2 shown]
	v_fmac_f16_e32 v96, 0x38b4, v34
	v_add_f16_e64 v144, v175, v176
	v_add_f16_e32 v36, v36, v59
	v_add_f16_e64 v59, v134, v159
	v_add_f16_e32 v34, v51, v60
	v_fmac_f16_e64 v166, 0x38b4, v170
	v_fmac_f16_e64 v40, 0xb8b4, v170
	v_add_f16_e64 v51, v156, v167
	v_fmac_f16_e64 v50, 0x34f2, v130
	v_fmac_f16_e64 v129, 0x34f2, v130
	;; [unrolled: 1-line block ×8, first 2 shown]
	v_add_f16_e64 v161, v161, v183
	v_fmac_f16_e32 v127, 0x38b4, v37
	v_fmac_f16_e64 v163, 0x34f2, v133
	v_fmac_f16_e64 v39, 0x34f2, v133
	;; [unrolled: 1-line block ×7, first 2 shown]
	v_pack_b32_f16 v36, v36, v59
	v_pack_b32_f16 v34, v34, v51
	;; [unrolled: 1-line block ×6, first 2 shown]
	v_lshrrev_b32_e32 v144, 16, v16
	v_lshrrev_b32_e32 v143, 16, v17
	;; [unrolled: 1-line block ×4, first 2 shown]
	v_fmac_f16_e64 v127, 0x34f2, v161
	v_pack_b32_f16 v50, v163, v164
	v_pack_b32_f16 v39, v39, v96
	ds_store_2addr_b32 v67, v36, v37 offset1:91
	ds_store_2addr_b32 v55, v50, v39 offset0:54 offset1:145
	ds_store_2addr_b32 v56, v51, v34 offset0:108 offset1:199
	v_mul_f16_e64 v34, v151, v144
	v_mul_f16_e64 v36, v38, v144
	;; [unrolled: 1-line block ×7, first 2 shown]
	v_pack_b32_f16 v40, v40, v127
	v_mul_f16_e64 v127, v42, v141
	v_fma_f16 v34, v38, v16, -v34
	v_fmac_f16_e64 v36, v151, v16
	v_fma_f16 v35, v35, v17, -v37
	v_fmac_f16_e64 v39, v152, v17
	;; [unrolled: 2-line block ×4, first 2 shown]
	v_add_f16_e32 v42, v33, v34
	v_add_f16_e32 v50, v35, v37
	v_sub_f16_e64 v128, v34, v35
	v_sub_f16_e64 v129, v38, v37
	v_add_f16_e64 v133, v66, v36
	v_add_f16_e64 v134, v39, v51
	;; [unrolled: 1-line block ×4, first 2 shown]
	v_sub_f16_e32 v63, v36, v127
	v_sub_f16_e32 v96, v39, v51
	v_sub_f16_e64 v131, v35, v34
	v_sub_f16_e32 v34, v34, v38
	v_sub_f16_e64 v135, v35, v37
	v_sub_f16_e64 v136, v36, v39
	v_sub_f16_e32 v36, v39, v36
	v_add_f16_e32 v35, v42, v35
	v_fma_f16 v42, -0.5, v50, v33
	v_add_f16_e64 v50, v128, v129
	v_add_f16_e64 v39, v133, v39
	v_fma_f16 v129, -0.5, v134, v66
	v_sub_f16_e64 v132, v37, v38
	v_fmac_f16_e64 v33, -0.5, v130
	v_fmac_f16_e64 v66, -0.5, v152
	v_sub_f16_e64 v151, v127, v51
	v_sub_f16_e64 v153, v51, v127
	v_add_f16_e32 v35, v35, v37
	v_fmamk_f16 v37, v63, 0x3b9c, v42
	v_add_f16_e32 v39, v39, v51
	v_fma_f16 v51, 0xbb9c, v34, v129
	v_add_f16_e64 v128, v131, v132
	v_fma_f16 v131, 0xbb9c, v96, v33
	v_fmac_f16_e32 v33, 0x3b9c, v96
	v_fma_f16 v132, 0x3b9c, v135, v66
	v_fmac_f16_e64 v66, 0xbb9c, v135
	v_fmac_f16_e32 v42, 0xbb9c, v63
	v_fmac_f16_e64 v129, 0x3b9c, v34
	v_add_f16_e64 v130, v136, v151
	v_fmac_f16_e32 v37, 0x38b4, v96
	v_fmac_f16_e64 v51, 0xb8b4, v135
	v_add_f16_e64 v36, v36, v153
	v_fmac_f16_e64 v131, 0x38b4, v63
	v_fmac_f16_e32 v33, 0xb8b4, v63
	v_fmac_f16_e64 v132, 0xb8b4, v34
	v_fmac_f16_e32 v66, 0x38b4, v34
	v_fmac_f16_e32 v42, 0xb8b4, v96
	v_fmac_f16_e64 v129, 0x38b4, v135
	v_fmac_f16_e64 v168, 0x34f2, v161
	v_add_f16_e32 v35, v35, v38
	v_add_f16_e32 v38, v39, v127
	v_fmac_f16_e32 v37, 0x34f2, v50
	v_fmac_f16_e64 v51, 0x34f2, v130
	v_fmac_f16_e64 v131, 0x34f2, v128
	;; [unrolled: 1-line block ×4, first 2 shown]
	v_fmac_f16_e32 v66, 0x34f2, v36
	v_fmac_f16_e32 v42, 0x34f2, v50
	v_fmac_f16_e64 v129, 0x34f2, v130
	v_pack_b32_f16 v60, v166, v168
	v_pack_b32_f16 v34, v35, v38
	;; [unrolled: 1-line block ×6, first 2 shown]
	ds_store_2addr_b32 v53, v59, v60 offset0:34 offset1:125
	ds_store_2addr_b32 v58, v40, v62 offset0:88 offset1:179
	;; [unrolled: 1-line block ×4, first 2 shown]
	ds_store_b32 v114, v37 offset:5096
	v_add_nc_u32_e32 v33, 0x888, v41
	global_wb scope:SCOPE_SE
	s_wait_dscnt 0x0
	s_barrier_signal -1
	s_barrier_wait -1
	global_inv scope:SCOPE_SE
	s_clause 0x1
	global_load_b64 v[37:38], v[64:65], off offset:1768
	global_load_b64 v[39:40], v49, s[2:3] offset:1768
	v_add_nc_u32_e32 v34, 0xb60, v41
	s_clause 0x2
	global_load_b64 v[41:42], v57, s[2:3] offset:1768
	global_load_b64 v[35:36], v33, s[2:3] offset:1768
	;; [unrolled: 1-line block ×3, first 2 shown]
	ds_load_2addr_b32 v[59:60], v67 offset1:91
	ds_load_2addr_b32 v[50:51], v56 offset0:108 offset1:199
	ds_load_2addr_b32 v[62:63], v61 offset0:142 offset1:233
	;; [unrolled: 1-line block ×6, first 2 shown]
	ds_load_b32 v49, v67 offset:5096
	v_lshl_add_u32 v96, v87, 2, v95
	s_add_nc_u64 s[2:3], s[12:13], 0x1554
	s_delay_alu instid0(VALU_DEP_1)
	v_add_nc_u32_e32 v66, 0x600, v96
	v_add_nc_u32_e32 v157, 0xc00, v96
	s_wait_dscnt 0x7
	v_lshrrev_b32_e32 v158, 16, v59
	s_wait_dscnt 0x6
	v_lshrrev_b32_e32 v151, 16, v51
	;; [unrolled: 2-line block ×4, first 2 shown]
	v_lshrrev_b32_e32 v162, 16, v63
	v_lshrrev_b32_e32 v164, 16, v65
	s_wait_dscnt 0x2
	v_lshrrev_b32_e32 v165, 16, v155
	s_wait_dscnt 0x1
	v_lshrrev_b32_e32 v167, 16, v57
	v_lshrrev_b32_e32 v168, 16, v156
	;; [unrolled: 1-line block ×3, first 2 shown]
	s_wait_dscnt 0x0
	v_lshrrev_b32_e32 v170, 16, v49
	v_lshrrev_b32_e32 v160, 16, v60
	;; [unrolled: 1-line block ×5, first 2 shown]
	s_wait_loadcnt 0x4
	v_lshrrev_b32_e32 v136, 16, v37
	v_lshrrev_b32_e32 v135, 16, v38
	s_wait_loadcnt 0x3
	v_lshrrev_b32_e32 v134, 16, v39
	v_lshrrev_b32_e32 v133, 16, v40
	;; [unrolled: 3-line block ×5, first 2 shown]
	v_mul_f16_e64 v171, v151, v136
	v_mul_f16_e64 v172, v51, v136
	;; [unrolled: 1-line block ×20, first 2 shown]
	v_fma_f16 v51, v51, v37, -v171
	v_fmac_f16_e64 v172, v151, v37
	v_fma_f16 v62, v62, v38, -v173
	v_fmac_f16_e64 v174, v159, v38
	;; [unrolled: 2-line block ×6, first 2 shown]
	v_fmac_f16_e64 v184, v167, v35
	v_fmac_f16_e64 v186, v168, v36
	;; [unrolled: 1-line block ×4, first 2 shown]
	v_fma_f16 v57, v57, v35, -v183
	v_fma_f16 v155, v156, v36, -v185
	;; [unrolled: 1-line block ×4, first 2 shown]
	v_add_f16_e64 v159, v51, v62
	v_add_f16_e64 v164, v172, v174
	;; [unrolled: 1-line block ×5, first 2 shown]
	v_sub_f16_e64 v161, v172, v174
	v_add_f16_e64 v162, v158, v172
	v_add_f16_e64 v165, v60, v64
	v_sub_f16_e64 v168, v176, v178
	v_add_f16_e64 v169, v160, v176
	v_add_f16_e64 v171, v153, v65
	;; [unrolled: 1-line block ×6, first 2 shown]
	v_sub_f16_e64 v187, v188, v190
	v_add_f16_e64 v189, v152, v188
	v_add_f16_e64 v188, v188, v190
	v_sub_f16_e32 v51, v51, v62
	v_sub_f16_e32 v64, v64, v63
	v_add_f16_e64 v179, v57, v155
	v_add_f16_e64 v185, v58, v49
	v_fma_f16 v59, -0.5, v159, v59
	v_fmac_f16_e64 v158, -0.5, v164
	v_fmac_f16_e64 v60, -0.5, v167
	;; [unrolled: 1-line block ×3, first 2 shown]
	v_sub_f16_e64 v173, v180, v182
	v_sub_f16_e64 v65, v65, v151
	v_add_f16_e64 v177, v154, v57
	v_sub_f16_e64 v180, v184, v186
	v_add_f16_e64 v181, v166, v184
	;; [unrolled: 2-line block ×3, first 2 shown]
	v_sub_f16_e32 v58, v58, v49
	v_add_f16_e64 v62, v156, v62
	v_add_f16_e64 v156, v162, v174
	;; [unrolled: 1-line block ×5, first 2 shown]
	v_fma_f16 v153, -0.5, v172, v153
	v_add_f16_e64 v164, v175, v182
	v_fmac_f16_e64 v163, -0.5, v176
	v_fmac_f16_e64 v166, -0.5, v183
	;; [unrolled: 1-line block ×5, first 2 shown]
	v_fma_f16 v170, 0x3aee, v161, v59
	v_fmac_f16_e64 v59, 0xbaee, v161
	v_fma_f16 v161, 0xbaee, v51, v158
	v_fmac_f16_e64 v158, 0x3aee, v51
	;; [unrolled: 2-line block ×4, first 2 shown]
	v_fma_f16 v64, 0x3aee, v173, v153
	v_fma_f16 v171, 0xbaee, v65, v163
	;; [unrolled: 1-line block ×3, first 2 shown]
	v_fmac_f16_e64 v166, 0x3aee, v57
	v_fma_f16 v151, 0xbaee, v58, v152
	v_fmac_f16_e64 v152, 0x3aee, v58
	v_pack_b32_f16 v57, v62, v156
	v_pack_b32_f16 v58, v63, v159
	;; [unrolled: 1-line block ×3, first 2 shown]
	v_fmac_f16_e64 v153, 0xbaee, v173
	v_fmac_f16_e64 v163, 0x3aee, v65
	v_add_f16_e64 v155, v177, v155
	v_add_f16_e64 v165, v181, v186
	;; [unrolled: 1-line block ×4, first 2 shown]
	v_fma_f16 v65, 0x3aee, v180, v154
	v_fmac_f16_e64 v154, 0xbaee, v180
	v_fma_f16 v49, 0x3aee, v187, v50
	v_fmac_f16_e64 v50, 0xbaee, v187
	v_pack_b32_f16 v156, v170, v161
	v_pack_b32_f16 v51, v51, v168
	;; [unrolled: 1-line block ×4, first 2 shown]
	ds_store_2addr_b32 v96, v58, v62 offset0:91 offset1:182
	v_pack_b32_f16 v58, v64, v171
	v_pack_b32_f16 v62, v153, v163
	v_pack_b32_f16 v63, v155, v165
	v_pack_b32_f16 v155, v167, v169
	v_pack_b32_f16 v64, v65, v172
	v_pack_b32_f16 v65, v154, v166
	v_pack_b32_f16 v153, v49, v151
	v_pack_b32_f16 v154, v50, v152
	ds_store_2addr_b32 v66, v156, v51 offset0:71 offset1:162
	ds_store_2addr_b32 v157, v59, v60 offset0:142 offset1:233
	ds_store_b32 v67, v57
	ds_store_b32 v67, v58 offset:2548
	ds_store_b32 v67, v62 offset:4368
	;; [unrolled: 1-line block ×8, first 2 shown]
	global_wb scope:SCOPE_SE
	s_wait_dscnt 0x0
	s_barrier_signal -1
	s_barrier_wait -1
	global_inv scope:SCOPE_SE
	s_clause 0xc
	global_load_b32 v66, v[20:21], off offset:5460
	global_load_b32 v157, v52, s[2:3] offset:420
	global_load_b32 v158, v52, s[2:3] offset:840
	;; [unrolled: 1-line block ×12, first 2 shown]
	v_add_nc_u32_e32 v51, 0x600, v67
	ds_load_2addr_b32 v[57:58], v67 offset1:105
	ds_load_2addr_b32 v[59:60], v55 offset0:82 offset1:187
	ds_load_2addr_b32 v[62:63], v51 offset0:36 offset1:141
	;; [unrolled: 1-line block ×5, first 2 shown]
	ds_load_b32 v169, v67 offset:5040
	s_wait_dscnt 0x6
	v_lshrrev_b32_e32 v170, 16, v57
	v_lshrrev_b32_e32 v171, 16, v58
	s_wait_dscnt 0x5
	v_lshrrev_b32_e32 v172, 16, v59
	v_lshrrev_b32_e32 v173, 16, v60
	;; [unrolled: 3-line block ×6, first 2 shown]
	s_wait_dscnt 0x0
	v_lshrrev_b32_e32 v182, 16, v169
	s_wait_loadcnt 0xc
	v_lshrrev_b32_e32 v183, 16, v66
	s_wait_loadcnt 0xb
	;; [unrolled: 2-line block ×13, first 2 shown]
	v_lshrrev_b32_e32 v195, 16, v168
	v_mul_f16_e64 v196, v170, v183
	v_mul_f16_e64 v183, v57, v183
	;; [unrolled: 1-line block ×26, first 2 shown]
	v_fma_f16 v57, v57, v66, -v196
	v_fmac_f16_e64 v183, v170, v66
	v_fma_f16 v58, v58, v157, -v197
	v_fmac_f16_e64 v184, v171, v157
	;; [unrolled: 2-line block ×13, first 2 shown]
	v_pack_b32_f16 v57, v57, v183
	v_pack_b32_f16 v58, v58, v184
	;; [unrolled: 1-line block ×13, first 2 shown]
	ds_store_2addr_b32 v67, v57, v58 offset1:105
	ds_store_2addr_b32 v55, v59, v60 offset0:82 offset1:187
	ds_store_2addr_b32 v51, v62, v63 offset0:36 offset1:141
	;; [unrolled: 1-line block ×5, first 2 shown]
	ds_store_b32 v67, v156 offset:5040
	s_and_saveexec_b32 s1, vcc_lo
	s_cbranch_execz .LBB0_13
; %bb.12:
	s_wait_alu 0xfffe
	v_add_co_u32 v57, s2, s2, v52
	s_wait_alu 0xf1ff
	v_add_co_ci_u32_e64 v58, null, s3, 0, s2
	s_clause 0xc
	global_load_b32 v52, v[57:58], off offset:364
	global_load_b32 v66, v[57:58], off offset:784
	;; [unrolled: 1-line block ×13, first 2 shown]
	ds_load_b32 v57, v96 offset:364
	s_wait_dscnt 0x0
	v_lshrrev_b32_e32 v58, 16, v57
	s_wait_loadcnt 0xc
	v_lshrrev_b32_e32 v59, 16, v52
	s_wait_loadcnt 0xb
	;; [unrolled: 2-line block ×5, first 2 shown]
	v_lshrrev_b32_e32 v171, 16, v159
	v_mul_f16_e32 v60, v58, v59
	v_mul_f16_e32 v59, v57, v59
	s_wait_loadcnt 0x7
	v_lshrrev_b32_e32 v172, 16, v160
	s_wait_loadcnt 0x6
	v_lshrrev_b32_e32 v173, 16, v161
	;; [unrolled: 2-line block ×3, first 2 shown]
	v_fma_f16 v57, v57, v52, -v60
	v_fmac_f16_e32 v59, v58, v52
	s_wait_loadcnt 0x4
	v_lshrrev_b32_e32 v175, 16, v163
	s_wait_loadcnt 0x3
	v_lshrrev_b32_e32 v176, 16, v164
	;; [unrolled: 2-line block ×4, first 2 shown]
	v_pack_b32_f16 v52, v57, v59
	s_wait_loadcnt 0x0
	v_lshrrev_b32_e32 v179, 16, v167
	ds_store_b32 v96, v52 offset:364
	ds_load_2addr_b32 v[57:58], v55 offset0:68 offset1:173
	v_add_nc_u32_e32 v52, 0x1200, v67
	ds_load_2addr_b32 v[59:60], v56 offset0:150 offset1:255
	ds_load_2addr_b32 v[62:63], v53 offset0:104 offset1:209
	;; [unrolled: 1-line block ×5, first 2 shown]
	s_wait_dscnt 0x5
	v_lshrrev_b32_e32 v180, 16, v57
	v_lshrrev_b32_e32 v182, 16, v58
	s_wait_dscnt 0x4
	v_lshrrev_b32_e32 v184, 16, v59
	v_lshrrev_b32_e32 v186, 16, v60
	;; [unrolled: 3-line block ×5, first 2 shown]
	v_mul_f16_e64 v181, v57, v168
	v_mul_f16_e64 v183, v58, v169
	s_wait_dscnt 0x0
	v_lshrrev_b32_e32 v200, 16, v155
	v_lshrrev_b32_e32 v202, 16, v156
	v_mul_f16_e64 v168, v180, v168
	v_mul_f16_e64 v169, v182, v169
	v_mul_f16_e64 v185, v59, v170
	v_mul_f16_e64 v187, v60, v171
	v_mul_f16_e64 v170, v184, v170
	v_mul_f16_e64 v171, v186, v171
	v_mul_f16_e64 v189, v62, v172
	v_mul_f16_e64 v191, v63, v173
	v_mul_f16_e64 v172, v188, v172
	v_mul_f16_e64 v173, v190, v173
	v_mul_f16_e64 v193, v64, v174
	v_mul_f16_e64 v195, v65, v175
	v_mul_f16_e64 v174, v192, v174
	v_mul_f16_e64 v175, v194, v175
	v_mul_f16_e64 v197, v153, v176
	v_mul_f16_e64 v199, v154, v177
	v_mul_f16_e64 v176, v196, v176
	v_mul_f16_e64 v177, v198, v177
	v_mul_f16_e64 v201, v155, v178
	v_mul_f16_e64 v203, v156, v179
	v_fmac_f16_e64 v181, v180, v66
	v_fmac_f16_e64 v183, v182, v157
	v_mul_f16_e64 v178, v200, v178
	v_mul_f16_e64 v179, v202, v179
	v_fma_f16 v57, v57, v66, -v168
	v_fma_f16 v58, v58, v157, -v169
	v_fmac_f16_e64 v185, v184, v158
	v_fmac_f16_e64 v187, v186, v159
	v_fma_f16 v59, v59, v158, -v170
	v_fma_f16 v60, v60, v159, -v171
	v_fmac_f16_e64 v189, v188, v160
	v_fmac_f16_e64 v191, v190, v161
	;; [unrolled: 4-line block ×5, first 2 shown]
	v_fma_f16 v154, v155, v166, -v178
	v_fma_f16 v155, v156, v167, -v179
	v_pack_b32_f16 v57, v57, v181
	v_pack_b32_f16 v58, v58, v183
	;; [unrolled: 1-line block ×12, first 2 shown]
	ds_store_2addr_b32 v55, v57, v58 offset0:68 offset1:173
	ds_store_2addr_b32 v56, v59, v60 offset0:150 offset1:255
	;; [unrolled: 1-line block ×6, first 2 shown]
.LBB0_13:
	s_wait_alu 0xfffe
	s_or_b32 exec_lo, exec_lo, s1
	global_wb scope:SCOPE_SE
	s_wait_dscnt 0x0
	s_barrier_signal -1
	s_barrier_wait -1
	global_inv scope:SCOPE_SE
	ds_load_2addr_b32 v[57:58], v67 offset1:105
	ds_load_2addr_b32 v[55:56], v55 offset0:82 offset1:187
	ds_load_2addr_b32 v[65:66], v51 offset0:36 offset1:141
	ds_load_2addr_b32 v[59:60], v53 offset0:118 offset1:223
	ds_load_2addr_b32 v[63:64], v61 offset0:72 offset1:177
	ds_load_2addr_b32 v[61:62], v54 offset0:26 offset1:131
	ds_load_b32 v183, v67 offset:5040
	s_and_saveexec_b32 s1, vcc_lo
	s_cbranch_execz .LBB0_15
; %bb.14:
	v_add_nc_u32_e32 v23, 0x400, v96
	v_add_nc_u32_e32 v24, 0x600, v96
	;; [unrolled: 1-line block ×3, first 2 shown]
	ds_load_2addr_b32 v[49:50], v96 offset0:91 offset1:196
	ds_load_b32 v97, v96 offset:5404
	ds_load_2addr_b32 v[47:48], v23 offset0:45 offset1:150
	v_add_nc_u32_e32 v23, 0xe00, v96
	ds_load_2addr_b32 v[45:46], v24 offset0:127 offset1:232
	v_add_nc_u32_e32 v24, 0x1000, v96
	ds_load_2addr_b32 v[43:44], v25 offset0:81 offset1:186
	ds_load_2addr_b32 v[25:26], v23 offset0:35 offset1:140
	;; [unrolled: 1-line block ×3, first 2 shown]
	s_wait_dscnt 0x6
	v_lshrrev_b32_e32 v151, 16, v49
	v_lshrrev_b32_e32 v152, 16, v50
	s_wait_dscnt 0x5
	v_lshrrev_b32_e32 v98, 16, v97
	s_wait_dscnt 0x4
	v_lshrrev_b32_e32 v145, 16, v47
	v_lshrrev_b32_e32 v146, 16, v48
	s_wait_dscnt 0x3
	v_lshrrev_b32_e32 v150, 16, v45
	;; [unrolled: 3-line block ×5, first 2 shown]
	v_lshrrev_b32_e32 v99, 16, v24
.LBB0_15:
	s_wait_alu 0xfffe
	s_or_b32 exec_lo, exec_lo, s1
	v_sub_f16_e64 v184, v152, v98
	v_add_f16_e64 v160, v97, v50
	v_sub_f16_e64 v186, v145, v99
	v_add_f16_e64 v153, v24, v47
	v_sub_f16_e64 v188, v146, v100
	v_mul_f16_e64 v158, 0xb770, v184
	v_mul_f16_e64 v164, 0xba95, v184
	;; [unrolled: 1-line block ×4, first 2 shown]
	v_add_f16_e64 v157, v23, v48
	v_fma_f16 v51, 0x3b15, v160, v158
	v_mul_f16_e64 v156, 0xbbf1, v188
	v_fma_f16 v52, 0x388b, v153, v154
	v_fma_f16 v53, 0xb5ac, v153, v155
	v_mul_f16_e64 v159, 0xb3a8, v188
	v_add_f16_e32 v51, v49, v51
	v_sub_f16_e64 v194, v150, v101
	v_add_f16_e64 v162, v26, v45
	v_sub_f16_e64 v199, v149, v102
	v_add_f16_e64 v166, v25, v46
	v_add_f16_e32 v51, v52, v51
	v_fma_f16 v52, 0x388b, v160, v164
	v_mul_f16_e64 v161, 0xbb7b, v194
	v_mul_f16_e64 v163, 0x394e, v194
	;; [unrolled: 1-line block ×4, first 2 shown]
	v_add_f16_e32 v52, v49, v52
	v_sub_f16_e64 v200, v148, v147
	v_add_f16_e64 v169, v44, v43
	v_mul_f16_e64 v181, 0xbbf1, v184
	v_mul_f16_e64 v174, 0xb3a8, v186
	v_add_f16_e32 v52, v53, v52
	v_fma_f16 v53, 0x2fb7, v157, v156
	v_mul_f16_e64 v168, 0xb3a8, v200
	v_mul_f16_e64 v170, 0x3770, v200
	v_fma_f16 v54, 0xbbc4, v153, v174
	v_mul_f16_e64 v182, 0xbb7b, v184
	v_add_f16_e32 v51, v53, v51
	v_fma_f16 v53, 0xbbc4, v157, v159
	v_mul_f16_e64 v179, 0x394e, v186
	v_mul_f16_e64 v175, 0x3b7b, v188
	;; [unrolled: 1-line block ×4, first 2 shown]
	v_add_f16_e32 v52, v53, v52
	v_fma_f16 v53, 0xb5ac, v162, v161
	v_fma_f16 v171, 0xb9fd, v153, v179
	v_mul_f16_e64 v177, 0xbbf1, v194
	v_mul_f16_e64 v172, 0xba95, v199
	;; [unrolled: 1-line block ×3, first 2 shown]
	v_add_f16_e32 v51, v53, v51
	v_fma_f16 v53, 0xb9fd, v162, v163
	s_wait_dscnt 0x2
	v_pk_add_f16 v187, v65, v64 neg_lo:[0,1] neg_hi:[0,1]
	v_pk_add_f16 v189, v64, v65
	v_pk_add_f16 v192, v66, v63 neg_lo:[0,1] neg_hi:[0,1]
	v_pk_add_f16 v193, v63, v66
	v_add_f16_e32 v52, v53, v52
	v_fma_f16 v53, 0xb9fd, v166, v165
	s_wait_dscnt 0x1
	v_pk_add_f16 v197, v55, v62 neg_lo:[0,1] neg_hi:[0,1]
	v_pk_add_f16 v198, v62, v55
	v_pk_add_f16 v195, v56, v61 neg_lo:[0,1] neg_hi:[0,1]
	v_pk_add_f16 v196, v61, v56
	v_add_f16_e32 v51, v53, v51
	v_fma_f16 v53, 0x2fb7, v166, v167
	v_mul_f16_e64 v191, 0xb3a8, v184
	v_mul_f16_e64 v190, 0x3770, v186
	s_wait_dscnt 0x0
	v_pk_add_f16 v204, v58, v183 neg_lo:[0,1] neg_hi:[0,1]
	v_pk_add_f16 v207, v183, v58
	v_add_f16_e32 v52, v53, v52
	v_fma_f16 v53, 0xbbc4, v169, v168
	v_lshrrev_b32_e32 v213, 16, v197
	v_lshrrev_b32_e32 v219, 16, v198
	;; [unrolled: 1-line block ×3, first 2 shown]
	global_wb scope:SCOPE_SE
	v_add_f16_e32 v51, v53, v51
	v_fma_f16 v53, 0x3b15, v169, v170
	v_mul_f16_e64 v214, 0xbb7b, v213
	v_mul_f16_e64 v220, 0xb5ac, v219
	v_mul_f16_e64 v223, 0xb3a8, v213
	v_mul_f16_e64 v226, 0xbbc4, v219
	v_add_f16_e32 v52, v53, v52
	v_fma_f16 v53, 0x2fb7, v160, v181
	v_fma_f16 v215, 0xb5ac, v198, v214
	;; [unrolled: 1-line block ×5, first 2 shown]
	v_add_f16_e32 v53, v49, v53
	s_barrier_signal -1
	s_barrier_wait -1
	global_inv scope:SCOPE_SE
	v_mul_f16_e64 v254, 0xb9fd, v219
	v_add_f16_e32 v53, v54, v53
	v_fma_f16 v54, 0xb5ac, v160, v182
	v_mul_f16_e64 v219, 0x2fb7, v219
	v_fmac_f16_e64 v220, 0xbb7b, v197
	v_fma_f16 v255, 0xb94e, v197, v254
	v_fmac_f16_e64 v254, 0x394e, v197
	v_add_f16_e32 v54, v49, v54
	v_fma_f16 v104, 0xbbf1, v197, v219
	v_fmac_f16_e64 v219, 0x3bf1, v197
	v_fmac_f16_e64 v226, 0xb3a8, v197
	s_delay_alu instid0(VALU_DEP_4) | instskip(SKIP_1) | instid1(VALU_DEP_1)
	v_add_f16_e64 v54, v171, v54
	v_fma_f16 v171, 0xb5ac, v157, v175
	v_add_f16_e64 v53, v171, v53
	v_fma_f16 v171, 0x3b15, v157, v178
	s_delay_alu instid0(VALU_DEP_1) | instskip(SKIP_1) | instid1(VALU_DEP_1)
	v_add_f16_e64 v54, v171, v54
	v_fma_f16 v171, 0x3b15, v162, v173
	v_add_f16_e64 v53, v171, v53
	v_fma_f16 v171, 0x2fb7, v162, v177
	s_delay_alu instid0(VALU_DEP_1) | instskip(SKIP_1) | instid1(VALU_DEP_1)
	;; [unrolled: 5-line block ×3, first 2 shown]
	v_add_f16_e64 v54, v171, v54
	v_mul_f16_e64 v171, 0xb94e, v200
	v_fma_f16 v180, 0xb9fd, v169, v171
	s_delay_alu instid0(VALU_DEP_1) | instskip(SKIP_1) | instid1(VALU_DEP_1)
	v_add_f16_e64 v53, v180, v53
	v_mul_f16_e64 v180, 0x3a95, v200
	v_fma_f16 v185, 0x388b, v169, v180
	s_delay_alu instid0(VALU_DEP_1) | instskip(SKIP_2) | instid1(VALU_DEP_2)
	v_add_f16_e64 v54, v185, v54
	v_pk_add_f16 v185, v57, v58
	v_pk_mul_f16 v58, 0xb770, v204 op_sel_hi:[0,1]
	v_pk_add_f16 v185, v185, v55
	s_delay_alu instid0(VALU_DEP_2) | instskip(SKIP_1) | instid1(VALU_DEP_3)
	v_pk_fma_f16 v208, 0x3b15, v207, v58 op_sel:[0,0,1] op_sel_hi:[0,1,0]
	v_pk_fma_f16 v209, 0x3b15, v207, v58 op_sel:[0,0,1] op_sel_hi:[0,1,0] neg_lo:[0,0,1] neg_hi:[0,0,1]
	v_pk_add_f16 v185, v185, v56
	s_delay_alu instid0(VALU_DEP_1) | instskip(NEXT) | instid1(VALU_DEP_1)
	v_pk_add_f16 v185, v185, v65
	v_pk_add_f16 v185, v185, v66
	v_mul_f16_e64 v66, 0xbb7b, v199
	s_delay_alu instid0(VALU_DEP_2) | instskip(SKIP_2) | instid1(VALU_DEP_3)
	v_pk_add_f16 v65, v185, v59
	v_mul_f16_e64 v185, 0xb94e, v184
	v_mul_f16_e64 v184, 0x3a95, v194
	v_pk_add_f16 v65, v65, v60
	s_delay_alu instid0(VALU_DEP_1) | instskip(SKIP_2) | instid1(VALU_DEP_3)
	v_pk_add_f16 v63, v65, v63
	v_mul_f16_e64 v65, 0x3bf1, v186
	v_mul_f16_e64 v186, 0xb94e, v188
	v_pk_add_f16 v63, v63, v64
	s_delay_alu instid0(VALU_DEP_3) | instskip(SKIP_2) | instid1(VALU_DEP_4)
	v_fma_f16 v56, 0x2fb7, v153, v65
	v_mul_f16_e64 v64, 0xba95, v188
	v_mul_f16_e64 v188, 0x3bf1, v200
	v_pk_add_f16 v55, v63, v61
	v_fma_f16 v61, 0x3b15, v153, v190
	v_mul_f16_e64 v63, 0x33a8, v194
	s_delay_alu instid0(VALU_DEP_3) | instskip(SKIP_2) | instid1(VALU_DEP_3)
	v_pk_add_f16 v201, v55, v62
	v_fma_f16 v55, 0xb9fd, v160, v185
	v_mul_f16_e64 v62, 0x3770, v199
	v_pk_add_f16 v206, v201, v183
	s_delay_alu instid0(VALU_DEP_3) | instskip(SKIP_1) | instid1(VALU_DEP_2)
	v_add_f16_e32 v55, v49, v55
	v_pk_mul_f16 v183, 0xba95, v197 op_sel_hi:[0,1]
	v_add_f16_e32 v55, v56, v55
	v_fma_f16 v56, 0xbbc4, v160, v191
	s_delay_alu instid0(VALU_DEP_3) | instskip(SKIP_1) | instid1(VALU_DEP_3)
	v_pk_fma_f16 v58, 0x388b, v198, v183 op_sel:[0,0,1] op_sel_hi:[0,1,0]
	v_pk_fma_f16 v183, 0x388b, v198, v183 op_sel:[0,0,1] op_sel_hi:[0,1,0] neg_lo:[0,0,1] neg_hi:[0,0,1]
	v_add_f16_e32 v56, v49, v56
	s_delay_alu instid0(VALU_DEP_2) | instskip(NEXT) | instid1(VALU_DEP_2)
	v_bfi_b32 v199, 0xffff, v58, v183
	v_add_f16_e32 v56, v61, v56
	v_fma_f16 v61, 0x388b, v157, v64
	s_delay_alu instid0(VALU_DEP_1) | instskip(SKIP_1) | instid1(VALU_DEP_1)
	v_add_f16_e32 v55, v61, v55
	v_fma_f16 v61, 0xb9fd, v157, v186
	v_add_f16_e32 v56, v61, v56
	v_fma_f16 v61, 0xbbc4, v162, v63
	s_delay_alu instid0(VALU_DEP_1) | instskip(SKIP_1) | instid1(VALU_DEP_1)
	v_add_f16_e32 v55, v61, v55
	v_fma_f16 v61, 0x388b, v162, v184
	v_add_f16_e32 v56, v61, v56
	v_fma_f16 v61, 0x3b15, v166, v62
	s_delay_alu instid0(VALU_DEP_1) | instskip(SKIP_2) | instid1(VALU_DEP_2)
	v_add_f16_e32 v55, v61, v55
	v_fma_f16 v61, 0xb5ac, v166, v66
	v_fma_f16 v66, v166, 0xb5ac, -v66
	v_add_f16_e32 v56, v61, v56
	v_mul_f16_e64 v61, 0xbb7b, v200
	s_delay_alu instid0(VALU_DEP_1) | instskip(NEXT) | instid1(VALU_DEP_1)
	v_fma_f16 v194, 0xb5ac, v169, v61
	v_add_f16_e64 v55, v194, v55
	v_fma_f16 v194, 0x2fb7, v169, v188
	s_delay_alu instid0(VALU_DEP_1) | instskip(SKIP_1) | instid1(VALU_DEP_1)
	v_add_f16_e64 v56, v194, v56
	v_bfi_b32 v194, 0xffff, v208, v209
	v_pk_add_f16 v194, v57, v194
	s_delay_alu instid0(VALU_DEP_1) | instskip(SKIP_1) | instid1(VALU_DEP_1)
	v_pk_add_f16 v200, v199, v194
	v_pk_mul_f16 v199, 0xbbf1, v195 op_sel_hi:[0,1]
	v_pk_fma_f16 v194, 0x2fb7, v196, v199 op_sel:[0,0,1] op_sel_hi:[0,1,0]
	v_pk_fma_f16 v199, 0x2fb7, v196, v199 op_sel:[0,0,1] op_sel_hi:[0,1,0] neg_lo:[0,0,1] neg_hi:[0,0,1]
	s_delay_alu instid0(VALU_DEP_1) | instskip(NEXT) | instid1(VALU_DEP_1)
	v_bfi_b32 v201, 0xffff, v194, v199
	v_pk_add_f16 v202, v201, v200
	v_pk_mul_f16 v201, 0xbb7b, v187 op_sel_hi:[0,1]
	s_delay_alu instid0(VALU_DEP_1) | instskip(SKIP_1) | instid1(VALU_DEP_1)
	v_pk_fma_f16 v200, 0xb5ac, v189, v201 op_sel:[0,0,1] op_sel_hi:[0,1,0]
	v_pk_fma_f16 v201, 0xb5ac, v189, v201 op_sel:[0,0,1] op_sel_hi:[0,1,0] neg_lo:[0,0,1] neg_hi:[0,0,1]
	v_bfi_b32 v203, 0xffff, v200, v201
	s_delay_alu instid0(VALU_DEP_1) | instskip(SKIP_1) | instid1(VALU_DEP_1)
	v_pk_add_f16 v205, v203, v202
	v_pk_mul_f16 v203, 0xb94e, v192 op_sel_hi:[0,1]
	v_pk_fma_f16 v202, 0xb9fd, v193, v203 op_sel:[0,0,1] op_sel_hi:[0,1,0]
	v_pk_fma_f16 v203, 0xb9fd, v193, v203 op_sel:[0,0,1] op_sel_hi:[0,1,0] neg_lo:[0,0,1] neg_hi:[0,0,1]
	s_delay_alu instid0(VALU_DEP_1) | instskip(NEXT) | instid1(VALU_DEP_1)
	v_bfi_b32 v210, 0xffff, v202, v203
	v_pk_add_f16 v210, v210, v205
	v_pk_add_f16 v205, v59, v60 neg_lo:[0,1] neg_hi:[0,1]
	v_pk_add_f16 v59, v60, v59
	v_lshrrev_b32_e32 v60, 16, v204
	s_delay_alu instid0(VALU_DEP_1) | instskip(NEXT) | instid1(VALU_DEP_1)
	v_mul_f16_e64 v211, 0xba95, v60
	v_fma_f16 v212, 0x388b, v207, v211
	s_delay_alu instid0(VALU_DEP_1) | instskip(NEXT) | instid1(VALU_DEP_1)
	v_add_f16_e64 v212, v57, v212
	v_add_f16_e64 v212, v215, v212
	v_lshrrev_b32_e32 v215, 16, v207
	s_delay_alu instid0(VALU_DEP_1) | instskip(NEXT) | instid1(VALU_DEP_1)
	v_mul_f16_e64 v216, 0x388b, v215
	v_fma_f16 v217, 0x3a95, v204, v216
	v_fmac_f16_e64 v216, 0xba95, v204
	s_delay_alu instid0(VALU_DEP_2) | instskip(NEXT) | instid1(VALU_DEP_1)
	v_add_f16_e64 v217, v218, v217
	v_add_f16_e64 v217, v221, v217
	v_mul_f16_e64 v221, 0xbbf1, v60
	s_delay_alu instid0(VALU_DEP_1) | instskip(NEXT) | instid1(VALU_DEP_1)
	v_fma_f16 v222, 0x2fb7, v207, v221
	v_add_f16_e64 v222, v57, v222
	s_delay_alu instid0(VALU_DEP_1) | instskip(SKIP_1) | instid1(VALU_DEP_1)
	v_add_f16_e64 v222, v224, v222
	v_mul_f16_e64 v224, 0x2fb7, v215
	v_fma_f16 v225, 0x3bf1, v204, v224
	v_fmac_f16_e64 v224, 0xbbf1, v204
	s_delay_alu instid0(VALU_DEP_2) | instskip(NEXT) | instid1(VALU_DEP_1)
	v_add_f16_e64 v225, v218, v225
	v_add_f16_e64 v225, v227, v225
	v_lshrrev_b32_e32 v227, 16, v195
	s_delay_alu instid0(VALU_DEP_1) | instskip(NEXT) | instid1(VALU_DEP_1)
	v_mul_f16_e64 v228, 0xb3a8, v227
	v_fma_f16 v229, 0xbbc4, v196, v228
	s_delay_alu instid0(VALU_DEP_1) | instskip(SKIP_1) | instid1(VALU_DEP_1)
	v_add_f16_e64 v212, v229, v212
	v_lshrrev_b32_e32 v229, 16, v196
	v_mul_f16_e64 v230, 0xbbc4, v229
	s_delay_alu instid0(VALU_DEP_1) | instskip(SKIP_1) | instid1(VALU_DEP_2)
	v_fma_f16 v231, 0x33a8, v195, v230
	v_fmac_f16_e64 v230, 0xb3a8, v195
	v_add_f16_e64 v217, v231, v217
	v_mul_f16_e64 v231, 0x3b7b, v227
	s_delay_alu instid0(VALU_DEP_1) | instskip(NEXT) | instid1(VALU_DEP_1)
	v_fma_f16 v232, 0xb5ac, v196, v231
	v_add_f16_e64 v222, v232, v222
	v_mul_f16_e64 v232, 0xb5ac, v229
	s_delay_alu instid0(VALU_DEP_1) | instskip(SKIP_1) | instid1(VALU_DEP_2)
	v_fma_f16 v233, 0xbb7b, v195, v232
	v_fmac_f16_e64 v232, 0x3b7b, v195
	v_add_f16_e64 v225, v233, v225
	v_lshrrev_b32_e32 v233, 16, v187
	s_delay_alu instid0(VALU_DEP_1) | instskip(NEXT) | instid1(VALU_DEP_1)
	v_mul_f16_e64 v234, 0x394e, v233
	v_fma_f16 v235, 0xb9fd, v189, v234
	s_delay_alu instid0(VALU_DEP_1) | instskip(SKIP_1) | instid1(VALU_DEP_1)
	v_add_f16_e64 v212, v235, v212
	v_lshrrev_b32_e32 v235, 16, v189
	v_mul_f16_e64 v236, 0xb9fd, v235
	s_delay_alu instid0(VALU_DEP_1) | instskip(SKIP_1) | instid1(VALU_DEP_2)
	v_fma_f16 v237, 0xb94e, v187, v236
	v_fmac_f16_e64 v236, 0x394e, v187
	v_add_f16_e64 v217, v237, v217
	v_mul_f16_e64 v237, 0x3770, v233
	s_delay_alu instid0(VALU_DEP_1) | instskip(NEXT) | instid1(VALU_DEP_1)
	v_fma_f16 v238, 0x3b15, v189, v237
	v_add_f16_e64 v222, v238, v222
	v_mul_f16_e64 v238, 0x3b15, v235
	s_delay_alu instid0(VALU_DEP_1) | instskip(SKIP_1) | instid1(VALU_DEP_2)
	v_fma_f16 v239, 0xb770, v187, v238
	v_fmac_f16_e64 v238, 0x3770, v187
	;; [unrolled: 21-line block ×3, first 2 shown]
	v_add_f16_e64 v225, v245, v225
	v_lshrrev_b32_e32 v245, 16, v205
	s_delay_alu instid0(VALU_DEP_1) | instskip(NEXT) | instid1(VALU_DEP_1)
	v_mul_f16_e64 v246, 0x3770, v245
	v_fma_f16 v247, 0x3b15, v59, v246
	s_delay_alu instid0(VALU_DEP_1) | instskip(SKIP_1) | instid1(VALU_DEP_1)
	v_add_f16_e64 v212, v247, v212
	v_mul_f16_e64 v247, 0xb94e, v245
	v_fma_f16 v248, 0xb9fd, v59, v247
	s_delay_alu instid0(VALU_DEP_1) | instskip(SKIP_1) | instid1(VALU_DEP_1)
	v_add_f16_e64 v222, v248, v222
	v_lshrrev_b32_e32 v248, 16, v59
	v_mul_f16_e64 v249, 0xb9fd, v248
	s_delay_alu instid0(VALU_DEP_1) | instskip(SKIP_1) | instid1(VALU_DEP_2)
	v_fma_f16 v250, 0x394e, v205, v249
	v_fmac_f16_e64 v249, 0xb94e, v205
	v_add_f16_e64 v225, v250, v225
	v_mul_f16_e64 v250, 0x3b15, v248
	s_delay_alu instid0(VALU_DEP_2) | instskip(NEXT) | instid1(VALU_DEP_2)
	v_pack_b32_f16 v222, v222, v225
	v_fma_f16 v251, 0xb770, v205, v250
	v_fmac_f16_e64 v250, 0x3770, v205
	s_delay_alu instid0(VALU_DEP_2) | instskip(SKIP_1) | instid1(VALU_DEP_2)
	v_add_f16_e64 v217, v251, v217
	v_pk_mul_f16 v251, 0xb3a8, v205 op_sel_hi:[0,1]
	v_pack_b32_f16 v212, v212, v217
	s_delay_alu instid0(VALU_DEP_2)
	v_pk_fma_f16 v252, 0xbbc4, v59, v251 op_sel:[0,0,1] op_sel_hi:[0,1,0]
	v_pk_fma_f16 v251, 0xbbc4, v59, v251 op_sel:[0,0,1] op_sel_hi:[0,1,0] neg_lo:[0,0,1] neg_hi:[0,0,1]
	v_mul_f16_e64 v217, 0x394e, v213
	v_mul_f16_e64 v213, 0x3bf1, v213
	ds_store_2addr_b32 v105, v212, v222 offset0:2 offset1:3
	v_bfi_b32 v253, 0xffff, v252, v251
	v_fma_f16 v225, 0xb9fd, v198, v217
	v_fma_f16 v103, 0x2fb7, v198, v213
	s_delay_alu instid0(VALU_DEP_3) | instskip(SKIP_3) | instid1(VALU_DEP_2)
	v_pk_add_f16 v210, v253, v210
	ds_store_2addr_b32 v105, v206, v210 offset1:1
	v_mul_f16_e64 v206, 0xbb7b, v60
	v_mul_f16_e32 v60, 0xb94e, v60
	v_fma_f16 v210, 0xb5ac, v207, v206
	v_fma_f16 v206, v207, 0xb5ac, -v206
	s_delay_alu instid0(VALU_DEP_2) | instskip(NEXT) | instid1(VALU_DEP_2)
	v_add_f16_e64 v210, v57, v210
	v_add_f16_e64 v206, v57, v206
	s_delay_alu instid0(VALU_DEP_2) | instskip(SKIP_2) | instid1(VALU_DEP_2)
	v_add_f16_e64 v210, v225, v210
	v_mul_f16_e64 v225, 0xb5ac, v215
	v_mul_f16_e64 v215, 0xb9fd, v215
	v_fma_f16 v253, 0x3b7b, v204, v225
	v_fmac_f16_e64 v225, 0xbb7b, v204
	s_delay_alu instid0(VALU_DEP_2) | instskip(NEXT) | instid1(VALU_DEP_1)
	v_add_f16_e64 v253, v218, v253
	v_add_f16_e64 v253, v255, v253
	v_fma_f16 v255, 0xb9fd, v207, v60
	v_fma_f16 v60, v207, 0xb9fd, -v60
	s_delay_alu instid0(VALU_DEP_2) | instskip(NEXT) | instid1(VALU_DEP_2)
	v_add_f16_e64 v255, v57, v255
	v_add_f16_e32 v60, v57, v60
	s_delay_alu instid0(VALU_DEP_2) | instskip(SKIP_2) | instid1(VALU_DEP_2)
	v_add_f16_e64 v103, v103, v255
	v_fma_f16 v255, 0x394e, v204, v215
	v_fmac_f16_e64 v215, 0xb94e, v204
	v_add_f16_e64 v255, v218, v255
	s_delay_alu instid0(VALU_DEP_1) | instskip(SKIP_2) | instid1(VALU_DEP_2)
	v_add_f16_e64 v104, v104, v255
	v_mul_f16_e64 v255, 0x3770, v227
	v_mul_f16_e64 v227, 0xba95, v227
	v_fma_f16 v70, 0x3b15, v196, v255
	s_delay_alu instid0(VALU_DEP_1) | instskip(SKIP_2) | instid1(VALU_DEP_2)
	v_add_f16_e64 v70, v70, v210
	v_mul_f16_e64 v210, 0x3b15, v229
	v_mul_f16_e64 v229, 0x388b, v229
	v_fma_f16 v71, 0xb770, v195, v210
	v_fmac_f16_e64 v210, 0x3770, v195
	s_delay_alu instid0(VALU_DEP_2) | instskip(SKIP_1) | instid1(VALU_DEP_1)
	v_add_f16_e64 v71, v71, v253
	v_fma_f16 v253, 0x388b, v196, v227
	v_add_f16_e64 v103, v253, v103
	v_fma_f16 v253, 0x3a95, v195, v229
	v_fmac_f16_e64 v229, 0xba95, v195
	s_delay_alu instid0(VALU_DEP_2) | instskip(SKIP_1) | instid1(VALU_DEP_1)
	v_add_f16_e64 v104, v253, v104
	v_mul_f16_e64 v253, 0xbbf1, v233
	v_fma_f16 v73, 0x2fb7, v189, v253
	s_delay_alu instid0(VALU_DEP_1) | instskip(SKIP_1) | instid1(VALU_DEP_1)
	v_add_f16_e32 v70, v73, v70
	v_mul_f16_e64 v73, 0x2fb7, v235
	v_fma_f16 v75, 0x3bf1, v187, v73
	v_fmac_f16_e64 v73, 0xbbf1, v187
	s_delay_alu instid0(VALU_DEP_2) | instskip(SKIP_1) | instid1(VALU_DEP_1)
	v_add_f16_e32 v71, v75, v71
	v_mul_f16_e64 v75, 0x33a8, v233
	v_fma_f16 v233, 0xbbc4, v189, v75
	s_delay_alu instid0(VALU_DEP_1) | instskip(SKIP_1) | instid1(VALU_DEP_1)
	v_add_f16_e64 v103, v233, v103
	v_mul_f16_e64 v233, 0xbbc4, v235
	v_fma_f16 v235, 0xb3a8, v187, v233
	v_fmac_f16_e64 v233, 0x33a8, v187
	s_delay_alu instid0(VALU_DEP_2) | instskip(SKIP_1) | instid1(VALU_DEP_1)
	v_add_f16_e64 v104, v235, v104
	v_mul_f16_e64 v235, 0x33a8, v239
	v_fma_f16 v77, 0xbbc4, v193, v235
	s_delay_alu instid0(VALU_DEP_1) | instskip(SKIP_1) | instid1(VALU_DEP_1)
	v_add_f16_e32 v70, v77, v70
	v_mul_f16_e64 v77, 0xbbc4, v241
	v_fma_f16 v80, 0xb3a8, v192, v77
	v_fmac_f16_e64 v77, 0x33a8, v192
	s_delay_alu instid0(VALU_DEP_2) | instskip(SKIP_1) | instid1(VALU_DEP_1)
	v_add_f16_e32 v71, v80, v71
	v_mul_f16_e64 v80, 0x3770, v239
	v_fma_f16 v239, 0x3b15, v193, v80
	s_delay_alu instid0(VALU_DEP_1) | instskip(SKIP_1) | instid1(VALU_DEP_1)
	v_add_f16_e64 v103, v239, v103
	v_mul_f16_e64 v239, 0x3b15, v241
	v_fma_f16 v241, 0xb770, v192, v239
	v_fmac_f16_e64 v239, 0x3770, v192
	s_delay_alu instid0(VALU_DEP_2) | instskip(SKIP_1) | instid1(VALU_DEP_1)
	v_add_f16_e64 v104, v241, v104
	v_mul_f16_e64 v241, 0x3a95, v245
	v_fma_f16 v82, 0x388b, v59, v241
	s_delay_alu instid0(VALU_DEP_1) | instskip(SKIP_1) | instid1(VALU_DEP_1)
	v_add_f16_e32 v70, v82, v70
	v_mul_f16_e64 v82, 0xbb7b, v245
	v_fma_f16 v245, 0xb5ac, v59, v82
	v_fma_f16 v82, v59, 0xb5ac, -v82
	s_delay_alu instid0(VALU_DEP_2) | instskip(SKIP_1) | instid1(VALU_DEP_1)
	v_add_f16_e64 v103, v245, v103
	v_mul_f16_e64 v245, 0xb5ac, v248
	v_fma_f16 v84, 0x3b7b, v205, v245
	v_fmac_f16_e64 v245, 0xbb7b, v205
	s_delay_alu instid0(VALU_DEP_2) | instskip(SKIP_1) | instid1(VALU_DEP_2)
	v_add_f16_e32 v84, v84, v104
	v_mul_f16_e64 v104, 0x388b, v248
	v_pack_b32_f16 v84, v103, v84
	s_delay_alu instid0(VALU_DEP_2) | instskip(SKIP_2) | instid1(VALU_DEP_3)
	v_fma_f16 v248, 0xba95, v205, v104
	v_fma_f16 v103, v207, 0x388b, -v211
	v_fmac_f16_e64 v104, 0x3a95, v205
	v_add_f16_e64 v71, v248, v71
	s_delay_alu instid0(VALU_DEP_3) | instskip(NEXT) | instid1(VALU_DEP_2)
	v_add_f16_e32 v103, v57, v103
	v_pack_b32_f16 v70, v70, v71
	v_bfi_b32 v71, 0xffff, v209, v208
	v_fma_f16 v208, v207, 0x2fb7, -v221
	v_pk_mul_f16 v207, 0xbbc4, v207 op_sel_hi:[0,1]
	s_delay_alu instid0(VALU_DEP_3) | instskip(NEXT) | instid1(VALU_DEP_3)
	v_pk_add_f16 v71, v57, v71
	v_add_f16_e64 v208, v57, v208
	s_delay_alu instid0(VALU_DEP_3) | instskip(SKIP_1) | instid1(VALU_DEP_2)
	v_pk_fma_f16 v209, 0xb3a8, v204, v207 op_sel:[0,0,1] op_sel_hi:[0,1,0]
	v_pk_fma_f16 v207, 0xb3a8, v204, v207 op_sel:[0,0,1] op_sel_hi:[0,1,0] neg_lo:[0,1,0] neg_hi:[0,1,0]
	v_alignbit_b32 v211, s0, v209, 16
	s_delay_alu instid0(VALU_DEP_2) | instskip(NEXT) | instid1(VALU_DEP_2)
	v_pk_add_f16 v207, v57, v207 op_sel:[1,0] op_sel_hi:[0,1]
	v_pk_add_f16 v211, v57, v211
	v_alignbit_b32 v57, s0, v57, 16
	s_delay_alu instid0(VALU_DEP_1) | instskip(SKIP_1) | instid1(VALU_DEP_1)
	v_pk_add_f16 v57, v57, v209
	v_pk_mul_f16 v209, 0x3b15, v198 op_sel_hi:[0,1]
	v_pk_fma_f16 v212, 0x3770, v197, v209 op_sel:[0,0,1] op_sel_hi:[0,1,0]
	v_pk_fma_f16 v209, 0x3770, v197, v209 op_sel:[0,0,1] op_sel_hi:[0,1,0] neg_lo:[0,1,0] neg_hi:[0,1,0]
	v_fma_f16 v197, v59, 0x388b, -v241
	s_delay_alu instid0(VALU_DEP_3) | instskip(NEXT) | instid1(VALU_DEP_3)
	v_alignbit_b32 v221, s0, v212, 16
	v_pk_add_f16 v207, v209, v207
	v_pk_mul_f16 v209, 0xb9fd, v196 op_sel_hi:[0,1]
	v_pk_add_f16 v57, v212, v57
	s_delay_alu instid0(VALU_DEP_4) | instskip(NEXT) | instid1(VALU_DEP_3)
	v_pk_add_f16 v211, v221, v211
	v_pk_fma_f16 v212, 0xb94e, v195, v209 op_sel:[0,0,1] op_sel_hi:[0,1,0]
	v_pk_fma_f16 v209, 0xb94e, v195, v209 op_sel:[0,0,1] op_sel_hi:[0,1,0] neg_lo:[0,1,0] neg_hi:[0,1,0]
	s_delay_alu instid0(VALU_DEP_2) | instskip(NEXT) | instid1(VALU_DEP_2)
	v_alignbit_b32 v221, s0, v212, 16
	v_pk_add_f16 v207, v209, v207
	v_pk_mul_f16 v209, 0x388b, v189 op_sel_hi:[0,1]
	v_pk_add_f16 v57, v212, v57
	s_delay_alu instid0(VALU_DEP_4) | instskip(NEXT) | instid1(VALU_DEP_3)
	v_pk_add_f16 v211, v221, v211
	v_pk_fma_f16 v212, 0x3a95, v187, v209 op_sel:[0,0,1] op_sel_hi:[0,1,0]
	v_pk_fma_f16 v209, 0x3a95, v187, v209 op_sel:[0,0,1] op_sel_hi:[0,1,0] neg_lo:[0,1,0] neg_hi:[0,1,0]
	s_delay_alu instid0(VALU_DEP_2) | instskip(NEXT) | instid1(VALU_DEP_2)
	;; [unrolled: 9-line block ×3, first 2 shown]
	v_alignbit_b32 v221, s0, v212, 16
	v_pk_add_f16 v207, v209, v207
	v_pk_mul_f16 v209, 0x2fb7, v59 op_sel_hi:[0,1]
	v_pk_add_f16 v57, v212, v57
	s_delay_alu instid0(VALU_DEP_4) | instskip(NEXT) | instid1(VALU_DEP_3)
	v_pk_add_f16 v211, v221, v211
	v_pk_fma_f16 v212, 0x3bf1, v205, v209 op_sel:[0,0,1] op_sel_hi:[0,1,0] neg_lo:[0,1,0] neg_hi:[0,1,0]
	v_pk_fma_f16 v209, 0x3bf1, v205, v209 op_sel:[0,0,1] op_sel_hi:[0,1,0]
	s_delay_alu instid0(VALU_DEP_2) | instskip(NEXT) | instid1(VALU_DEP_2)
	v_pk_add_f16 v207, v212, v207
	v_pk_add_f16 v57, v209, v57
	v_alignbit_b32 v209, s0, v209, 16
	s_delay_alu instid0(VALU_DEP_2) | instskip(NEXT) | instid1(VALU_DEP_2)
	v_alignbit_b32 v57, v57, v207, 16
	v_pk_add_f16 v209, v209, v211
	s_delay_alu instid0(VALU_DEP_1)
	v_pack_b32_f16 v207, v209, v207
	ds_store_2addr_b32 v105, v70, v84 offset0:4 offset1:5
	ds_store_2addr_b32 v105, v207, v57 offset0:6 offset1:7
	v_fma_f16 v57, v198, 0xb9fd, -v217
	v_add_f16_e64 v70, v218, v225
	v_fma_f16 v84, v198, 0x2fb7, -v213
	s_delay_alu instid0(VALU_DEP_3) | instskip(SKIP_1) | instid1(VALU_DEP_4)
	v_add_f16_e64 v57, v57, v206
	v_fma_f16 v206, v196, 0x3b15, -v255
	v_add_f16_e64 v70, v254, v70
	s_delay_alu instid0(VALU_DEP_4) | instskip(SKIP_1) | instid1(VALU_DEP_4)
	v_add_f16_e32 v60, v84, v60
	v_add_f16_e64 v84, v218, v215
	v_add_f16_e64 v57, v206, v57
	v_fma_f16 v206, v196, 0x388b, -v227
	v_add_f16_e64 v70, v210, v70
	s_delay_alu instid0(VALU_DEP_4) | instskip(NEXT) | instid1(VALU_DEP_3)
	v_add_f16_e64 v84, v219, v84
	v_add_f16_e64 v60, v206, v60
	v_fma_f16 v206, v189, 0x2fb7, -v253
	s_delay_alu instid0(VALU_DEP_3) | instskip(SKIP_4) | instid1(VALU_DEP_4)
	v_add_f16_e64 v84, v229, v84
	v_add_f16_e32 v70, v73, v70
	v_fma_f16 v73, v189, 0xbbc4, -v75
	v_fma_f16 v75, v193, 0xbbc4, -v235
	v_add_f16_e64 v57, v206, v57
	v_add_f16_e32 v70, v77, v70
	s_delay_alu instid0(VALU_DEP_4) | instskip(SKIP_1) | instid1(VALU_DEP_4)
	v_add_f16_e32 v60, v73, v60
	v_add_f16_e64 v73, v233, v84
	v_add_f16_e32 v57, v75, v57
	v_fma_f16 v75, v193, 0x3b15, -v80
	v_add_f16_e32 v70, v104, v70
	v_add_f16_e64 v77, v218, v224
	v_add_f16_e64 v73, v239, v73
	;; [unrolled: 1-line block ×3, first 2 shown]
	v_add_f16_e32 v60, v75, v60
	v_add_f16_e64 v75, v218, v216
	v_fma_f16 v80, v198, 0xb5ac, -v214
	v_add_f16_e64 v73, v245, v73
	v_fma_f16 v84, v198, 0xbbc4, -v223
	v_add_f16_e32 v60, v82, v60
	v_pack_b32_f16 v57, v57, v70
	v_add_f16_e32 v80, v80, v103
	v_add_f16_e64 v75, v220, v75
	v_add_f16_e64 v84, v84, v208
	v_pack_b32_f16 v60, v60, v73
	v_add_f16_e64 v77, v226, v77
	v_fma_f16 v103, v196, 0xbbc4, -v228
	v_fma_f16 v196, v196, 0xb5ac, -v231
	v_add_f16_e64 v75, v230, v75
	ds_store_2addr_b32 v105, v60, v57 offset0:8 offset1:9
	v_bfi_b32 v57, 0xffff, v183, v58
	v_add_f16_e32 v80, v103, v80
	v_add_f16_e64 v84, v196, v84
	v_add_f16_e64 v77, v232, v77
	v_fma_f16 v103, v189, 0xb9fd, -v234
	v_fma_f16 v104, v189, 0x3b15, -v237
	v_pk_add_f16 v57, v57, v71
	v_bfi_b32 v58, 0xffff, v199, v194
	v_add_f16_e64 v75, v236, v75
	v_add_f16_e32 v80, v103, v80
	v_add_f16_e32 v82, v104, v84
	v_add_f16_e64 v77, v238, v77
	v_fma_f16 v84, v193, 0x2fb7, -v240
	v_fma_f16 v103, v193, 0x388b, -v243
	v_pk_add_f16 v57, v58, v57
	v_bfi_b32 v58, 0xffff, v201, v200
	v_add_f16_e64 v75, v242, v75
	v_add_f16_e32 v80, v84, v80
	v_add_f16_e32 v82, v103, v82
	;; [unrolled: 8-line block ×3, first 2 shown]
	v_add_f16_e64 v77, v249, v77
	v_pk_add_f16 v57, v58, v57
	v_bfi_b32 v58, 0xffff, v251, v252
	v_pack_b32_f16 v70, v70, v75
	v_add_f16_e64 v60, v98, v152
	v_pack_b32_f16 v59, v59, v77
	v_sub_f16_e32 v73, v47, v24
	v_pk_add_f16 v57, v58, v57
	ds_store_2addr_b32 v105, v59, v70 offset0:10 offset1:11
	ds_store_b32 v105, v57 offset:48
	v_sub_f16_e32 v70, v50, v97
	v_add_f16_e64 v58, v99, v145
	v_mul_f16_e64 v192, 0xbb7b, v73
	v_mul_f16_e64 v200, 0xb3a8, v73
	;; [unrolled: 1-line block ×3, first 2 shown]
	v_mul_f16_e32 v59, 0xb770, v70
	v_mul_f16_e64 v195, 0xba95, v70
	v_fma_f16 v77, v58, 0xb5ac, -v192
	v_mul_f16_e64 v202, 0xbbf1, v70
	v_fma_f16 v80, v58, 0xbbc4, -v200
	v_fma_f16 v57, v60, 0x3b15, -v59
	v_mul_f16_e64 v209, 0xbb7b, v70
	v_fma_f16 v82, v58, 0xb9fd, -v206
	v_mul_f16_e64 v213, 0xb94e, v70
	v_mul_f16_e64 v214, 0x3bf1, v73
	v_add_f16_e64 v71, v151, v57
	v_mul_f16_e32 v57, 0xba95, v73
	v_add_f16_e64 v194, v101, v150
	v_add_f16_e64 v197, v102, v149
	v_fma_f16 v103, v58, 0x2fb7, -v214
	v_add_f16_e64 v199, v147, v148
	v_fma_f16 v75, v58, 0x388b, -v57
	s_delay_alu instid0(VALU_DEP_1) | instskip(SKIP_1) | instid1(VALU_DEP_1)
	v_add_f16_e32 v71, v75, v71
	v_fma_f16 v75, v60, 0x388b, -v195
	v_add_f16_e64 v75, v151, v75
	s_delay_alu instid0(VALU_DEP_1) | instskip(SKIP_1) | instid1(VALU_DEP_1)
	v_add_f16_e32 v75, v77, v75
	v_fma_f16 v77, v60, 0x2fb7, -v202
	v_add_f16_e64 v77, v151, v77
	;; [unrolled: 4-line block ×3, first 2 shown]
	s_delay_alu instid0(VALU_DEP_1) | instskip(SKIP_1) | instid1(VALU_DEP_1)
	v_add_f16_e32 v80, v82, v80
	v_mul_f16_e32 v82, 0xbbc4, v60
	v_fmamk_f16 v84, v70, 0x33a8, v82
	v_fmac_f16_e32 v82, 0xb3a8, v70
	v_fma_f16 v70, v60, 0xb9fd, -v213
	s_delay_alu instid0(VALU_DEP_3) | instskip(NEXT) | instid1(VALU_DEP_3)
	v_add_f16_e64 v84, v151, v84
	v_add_f16_e64 v82, v151, v82
	s_delay_alu instid0(VALU_DEP_3) | instskip(NEXT) | instid1(VALU_DEP_1)
	v_add_f16_e64 v70, v151, v70
	v_add_f16_e32 v70, v103, v70
	v_mul_f16_e32 v103, 0x3b15, v58
	s_delay_alu instid0(VALU_DEP_1) | instskip(SKIP_3) | instid1(VALU_DEP_4)
	v_fmamk_f16 v104, v73, 0xb770, v103
	v_fmac_f16_e32 v103, 0x3770, v73
	v_fma_f16 v73, v160, 0xbbc4, -v191
	v_add_f16_e64 v191, v100, v146
	v_add_f16_e32 v84, v104, v84
	s_delay_alu instid0(VALU_DEP_4) | instskip(SKIP_3) | instid1(VALU_DEP_3)
	v_add_f16_e32 v82, v103, v82
	v_sub_f16_e32 v103, v48, v23
	v_add_f16_e32 v73, v49, v73
	v_fma_f16 v104, v153, 0x3b15, -v190
	v_mul_f16_e64 v190, 0xbbf1, v103
	v_mul_f16_e64 v201, 0xb3a8, v103
	s_delay_alu instid0(VALU_DEP_3) | instskip(SKIP_4) | instid1(VALU_DEP_2)
	v_add_f16_e32 v73, v104, v73
	v_mul_f16_e64 v204, 0x3b7b, v103
	v_mul_f16_e64 v212, 0x3770, v103
	v_fma_f16 v104, v191, 0x2fb7, -v190
	v_mul_f16_e64 v217, 0xba95, v103
	v_add_f16_e32 v71, v104, v71
	v_fma_f16 v104, v191, 0xbbc4, -v201
	s_delay_alu instid0(VALU_DEP_1) | instskip(SKIP_1) | instid1(VALU_DEP_1)
	v_add_f16_e32 v75, v104, v75
	v_fma_f16 v104, v191, 0xb5ac, -v204
	v_add_f16_e32 v77, v104, v77
	v_fma_f16 v104, v191, 0x3b15, -v212
	s_delay_alu instid0(VALU_DEP_1) | instskip(SKIP_1) | instid1(VALU_DEP_1)
	v_add_f16_e32 v80, v104, v80
	v_fma_f16 v104, v191, 0x388b, -v217
	v_add_f16_e32 v70, v104, v70
	v_mul_f16_e64 v104, 0xb9fd, v191
	s_delay_alu instid0(VALU_DEP_1) | instskip(SKIP_2) | instid1(VALU_DEP_3)
	v_fmamk_f16 v105, v103, 0x394e, v104
	v_fmac_f16_e32 v104, 0xb94e, v103
	v_fma_f16 v103, v157, 0xb9fd, -v186
	v_add_f16_e32 v84, v105, v84
	s_delay_alu instid0(VALU_DEP_3) | instskip(NEXT) | instid1(VALU_DEP_3)
	v_add_f16_e32 v82, v104, v82
	v_add_f16_e32 v73, v103, v73
	v_sub_f16_e32 v103, v45, v26
	s_delay_alu instid0(VALU_DEP_1)
	v_mul_f16_e64 v193, 0xbb7b, v103
	v_mul_f16_e64 v203, 0x394e, v103
	;; [unrolled: 1-line block ×5, first 2 shown]
	v_fma_f16 v104, v194, 0xb5ac, -v193
	s_delay_alu instid0(VALU_DEP_1) | instskip(SKIP_1) | instid1(VALU_DEP_1)
	v_add_f16_e32 v71, v104, v71
	v_fma_f16 v104, v194, 0xb9fd, -v203
	v_add_f16_e32 v75, v104, v75
	v_fma_f16 v104, v194, 0x3b15, -v207
	s_delay_alu instid0(VALU_DEP_1) | instskip(SKIP_1) | instid1(VALU_DEP_1)
	v_add_f16_e32 v77, v104, v77
	v_fma_f16 v104, v194, 0x2fb7, -v215
	v_add_f16_e32 v80, v104, v80
	v_fma_f16 v104, v194, 0xbbc4, -v219
	s_delay_alu instid0(VALU_DEP_1) | instskip(SKIP_1) | instid1(VALU_DEP_1)
	v_add_f16_e32 v70, v104, v70
	v_mul_f16_e64 v104, 0x388b, v194
	v_fmamk_f16 v105, v103, 0xba95, v104
	v_fmac_f16_e32 v104, 0x3a95, v103
	v_fma_f16 v103, v162, 0x388b, -v184
	s_delay_alu instid0(VALU_DEP_3) | instskip(NEXT) | instid1(VALU_DEP_3)
	v_add_f16_e32 v84, v105, v84
	v_add_f16_e32 v82, v104, v82
	s_delay_alu instid0(VALU_DEP_3) | instskip(SKIP_1) | instid1(VALU_DEP_2)
	v_add_f16_e32 v73, v103, v73
	v_sub_f16_e32 v103, v46, v25
	v_add_f16_e32 v73, v66, v73
	s_delay_alu instid0(VALU_DEP_2)
	v_mul_f16_e64 v196, 0xb94e, v103
	v_mul_f16_e64 v205, 0x3bf1, v103
	;; [unrolled: 1-line block ×5, first 2 shown]
	v_fma_f16 v104, v197, 0xb9fd, -v196
	s_delay_alu instid0(VALU_DEP_1) | instskip(SKIP_1) | instid1(VALU_DEP_1)
	v_add_f16_e32 v71, v104, v71
	v_fma_f16 v104, v197, 0x2fb7, -v205
	v_add_f16_e32 v75, v104, v75
	v_fma_f16 v104, v197, 0x388b, -v210
	s_delay_alu instid0(VALU_DEP_1) | instskip(SKIP_1) | instid1(VALU_DEP_1)
	v_add_f16_e32 v77, v104, v77
	v_fma_f16 v104, v197, 0xbbc4, -v216
	v_add_f16_e32 v80, v104, v80
	v_fma_f16 v104, v197, 0x3b15, -v220
	s_delay_alu instid0(VALU_DEP_1) | instskip(SKIP_1) | instid1(VALU_DEP_1)
	v_add_f16_e32 v70, v104, v70
	v_mul_f16_e64 v104, 0xb5ac, v197
	v_fmamk_f16 v105, v103, 0x3b7b, v104
	v_fmac_f16_e32 v104, 0xbb7b, v103
	v_sub_f16_e32 v103, v43, v44
	s_delay_alu instid0(VALU_DEP_3) | instskip(NEXT) | instid1(VALU_DEP_3)
	v_add_f16_e32 v84, v105, v84
	v_add_f16_e32 v82, v104, v82
	s_delay_alu instid0(VALU_DEP_3)
	v_mul_f16_e64 v198, 0xb3a8, v103
	v_mul_f16_e64 v208, 0x3770, v103
	;; [unrolled: 1-line block ×5, first 2 shown]
	v_fma_f16 v66, v199, 0xbbc4, -v198
	s_delay_alu instid0(VALU_DEP_1) | instskip(SKIP_1) | instid1(VALU_DEP_1)
	v_add_f16_e32 v66, v66, v71
	v_fma_f16 v71, v199, 0x3b15, -v208
	v_add_f16_e64 v183, v71, v75
	v_fma_f16 v71, v199, 0xb9fd, -v211
	s_delay_alu instid0(VALU_DEP_1) | instskip(SKIP_1) | instid1(VALU_DEP_1)
	v_add_f16_e32 v105, v71, v77
	v_fma_f16 v71, v199, 0x388b, -v218
	v_add_f16_e64 v184, v71, v80
	v_fma_f16 v71, v199, 0xb5ac, -v221
	s_delay_alu instid0(VALU_DEP_1) | instskip(SKIP_1) | instid1(VALU_DEP_1)
	v_add_f16_e64 v186, v71, v70
	v_mul_f16_e64 v70, 0x2fb7, v199
	v_fmamk_f16 v71, v103, 0xbbf1, v70
	v_fmac_f16_e32 v70, 0x3bf1, v103
	s_delay_alu instid0(VALU_DEP_2) | instskip(SKIP_1) | instid1(VALU_DEP_3)
	v_add_f16_e64 v187, v71, v84
	v_fma_f16 v71, v169, 0x2fb7, -v188
	v_add_f16_e64 v189, v70, v82
	s_delay_alu instid0(VALU_DEP_2)
	v_add_f16_e64 v188, v71, v73
	s_and_saveexec_b32 s1, vcc_lo
	s_cbranch_execz .LBB0_17
; %bb.16:
	v_add_f16_e32 v50, v50, v49
	s_delay_alu instid0(VALU_DEP_1) | instskip(SKIP_1) | instid1(VALU_DEP_2)
	v_add_f16_e32 v47, v47, v50
	v_mul_f16_e32 v50, 0xb9fd, v58
	v_add_f16_e32 v47, v48, v47
	v_mul_f16_e64 v48, 0x388b, v191
	s_delay_alu instid0(VALU_DEP_3) | instskip(NEXT) | instid1(VALU_DEP_3)
	v_add_f16_e64 v50, v206, v50
	v_add_f16_e32 v45, v45, v47
	v_mul_f16_e32 v47, 0x2fb7, v58
	s_delay_alu instid0(VALU_DEP_4) | instskip(NEXT) | instid1(VALU_DEP_3)
	v_add_f16_e64 v48, v217, v48
	v_add_f16_e32 v45, v46, v45
	v_mul_f16_e64 v46, 0x3b15, v160
	s_delay_alu instid0(VALU_DEP_4) | instskip(NEXT) | instid1(VALU_DEP_3)
	v_add_f16_e64 v47, v214, v47
	v_add_f16_e32 v43, v43, v45
	v_mul_f16_e64 v45, 0x388b, v160
	s_delay_alu instid0(VALU_DEP_4) | instskip(NEXT) | instid1(VALU_DEP_3)
	v_sub_f16_e64 v46, v46, v158
	v_add_f16_e32 v43, v44, v43
	v_mul_f16_e64 v44, 0x2fb7, v160
	s_delay_alu instid0(VALU_DEP_4) | instskip(NEXT) | instid1(VALU_DEP_4)
	v_sub_f16_e64 v45, v45, v164
	v_add_f16_e32 v46, v49, v46
	s_delay_alu instid0(VALU_DEP_4) | instskip(SKIP_3) | instid1(VALU_DEP_4)
	v_add_f16_e32 v25, v25, v43
	v_mul_f16_e64 v43, 0xb5ac, v160
	v_sub_f16_e64 v44, v44, v181
	v_add_f16_e32 v45, v49, v45
	v_add_f16_e32 v25, v26, v25
	v_mul_f16_e64 v26, 0xb9fd, v160
	v_sub_f16_e64 v43, v43, v182
	v_add_f16_e32 v44, v49, v44
	s_delay_alu instid0(VALU_DEP_4) | instskip(SKIP_3) | instid1(VALU_DEP_4)
	v_add_f16_e32 v23, v23, v25
	v_mul_f16_e32 v25, 0xb9fd, v60
	v_sub_f16_e64 v26, v26, v185
	v_add_f16_e32 v43, v49, v43
	v_add_f16_e32 v23, v24, v23
	s_delay_alu instid0(VALU_DEP_4) | instskip(NEXT) | instid1(VALU_DEP_4)
	v_add_f16_e64 v25, v213, v25
	v_add_f16_e32 v26, v49, v26
	v_mul_f16_e64 v49, 0xbbc4, v194
	v_add_f16_e64 v24, v152, v151
	v_add_f16_e32 v23, v97, v23
	v_add_f16_e64 v25, v151, v25
	s_delay_alu instid0(VALU_DEP_4) | instskip(NEXT) | instid1(VALU_DEP_4)
	v_add_f16_e64 v49, v219, v49
	v_add_f16_e64 v24, v145, v24
	s_delay_alu instid0(VALU_DEP_3) | instskip(SKIP_1) | instid1(VALU_DEP_3)
	v_add_f16_e32 v25, v47, v25
	v_mul_f16_e64 v47, 0x2fb7, v153
	v_add_f16_e64 v24, v146, v24
	s_delay_alu instid0(VALU_DEP_3) | instskip(NEXT) | instid1(VALU_DEP_3)
	v_add_f16_e32 v25, v48, v25
	v_sub_f16_e32 v47, v47, v65
	v_mul_f16_e32 v48, 0xb5ac, v60
	s_delay_alu instid0(VALU_DEP_4) | instskip(NEXT) | instid1(VALU_DEP_4)
	v_add_f16_e64 v24, v150, v24
	v_add_f16_e32 v25, v49, v25
	s_delay_alu instid0(VALU_DEP_4) | instskip(SKIP_4) | instid1(VALU_DEP_4)
	v_add_f16_e32 v26, v47, v26
	v_mul_f16_e64 v47, 0x388b, v157
	v_mul_f16_e64 v49, 0x3b15, v197
	v_add_f16_e64 v48, v209, v48
	v_add_f16_e64 v24, v149, v24
	v_sub_f16_e32 v47, v47, v64
	s_delay_alu instid0(VALU_DEP_4) | instskip(NEXT) | instid1(VALU_DEP_4)
	v_add_f16_e64 v49, v220, v49
	v_add_f16_e64 v48, v151, v48
	s_delay_alu instid0(VALU_DEP_4) | instskip(NEXT) | instid1(VALU_DEP_4)
	v_add_f16_e64 v24, v148, v24
	v_add_f16_e32 v26, v47, v26
	v_mul_f16_e64 v47, 0xbbc4, v162
	v_add_f16_e32 v25, v49, v25
	v_mul_f16_e64 v49, 0x3b15, v191
	;; [unrolled: 2-line block ×3, first 2 shown]
	v_sub_f16_e32 v47, v47, v63
	v_mul_f16_e64 v63, 0x388b, v169
	v_add_f16_e64 v49, v212, v49
	v_add_f16_e64 v24, v147, v24
	;; [unrolled: 1-line block ×3, first 2 shown]
	v_add_f16_e32 v26, v47, v26
	v_mul_f16_e64 v47, 0x3b15, v166
	v_add_f16_e32 v48, v49, v48
	v_mul_f16_e64 v49, 0x2fb7, v194
	v_add_f16_e32 v25, v50, v25
	v_mul_f16_e32 v50, 0x2fb7, v60
	v_sub_f16_e32 v47, v47, v62
	v_sub_f16_e64 v63, v63, v180
	v_add_f16_e64 v49, v215, v49
	v_mul_f16_e64 v62, 0xb5ac, v169
	v_add_f16_e64 v50, v202, v50
	v_add_f16_e32 v26, v47, v26
	v_mul_f16_e64 v47, 0xb9fd, v153
	v_add_f16_e32 v48, v49, v48
	v_mul_f16_e64 v49, 0xbbc4, v197
	v_add_f16_e64 v50, v151, v50
	v_sub_f16_e32 v61, v62, v61
	v_sub_f16_e64 v47, v47, v179
	v_mul_f16_e64 v62, 0x388b, v199
	v_add_f16_e64 v49, v216, v49
	v_add_f16_e32 v24, v102, v24
	v_add_f16_e32 v26, v61, v26
	;; [unrolled: 1-line block ×3, first 2 shown]
	v_mul_f16_e64 v47, 0x3b15, v157
	v_add_f16_e32 v48, v49, v48
	v_mul_f16_e32 v49, 0xbbc4, v58
	v_add_f16_e64 v62, v218, v62
	v_mul_f16_e64 v61, 0x3b15, v194
	v_sub_f16_e64 v47, v47, v178
	v_add_f16_e32 v24, v101, v24
	v_add_f16_e64 v49, v200, v49
	v_add_f16_e32 v48, v62, v48
	v_mul_f16_e64 v62, 0xbbc4, v153
	v_add_f16_e32 v43, v47, v43
	v_mul_f16_e64 v47, 0x2fb7, v162
	v_add_f16_e32 v49, v49, v50
	v_mul_f16_e64 v50, 0xb5ac, v191
	v_add_f16_e64 v61, v207, v61
	v_sub_f16_e64 v62, v62, v174
	v_sub_f16_e64 v47, v47, v177
	v_add_f16_e32 v24, v100, v24
	v_add_f16_e64 v50, v204, v50
	v_pack_b32_f16 v25, v26, v25
	v_add_f16_e32 v44, v62, v44
	v_add_f16_e32 v43, v47, v43
	v_mul_f16_e64 v47, 0xbbc4, v166
	v_add_f16_e32 v49, v50, v49
	v_mul_f16_e32 v50, 0x388b, v60
	v_mul_f16_e64 v62, 0x388b, v197
	v_add_f16_e32 v24, v99, v24
	v_sub_f16_e64 v47, v47, v176
	v_add_f16_e32 v49, v61, v49
	v_add_f16_e64 v50, v195, v50
	v_mul_f16_e64 v61, 0xb5ac, v157
	v_add_f16_e64 v62, v210, v62
	v_add_f16_e32 v43, v47, v43
	v_mul_f16_e32 v47, 0xb5ac, v58
	v_add_f16_e64 v50, v151, v50
	v_mul_f16_e32 v58, 0x388b, v58
	v_sub_f16_e64 v61, v61, v175
	v_add_f16_e32 v43, v63, v43
	v_add_f16_e64 v47, v192, v47
	v_mul_f16_e64 v63, 0xb9fd, v197
	v_add_f16_e32 v57, v57, v58
	v_mul_f16_e64 v58, 0x388b, v153
	v_add_f16_e32 v44, v61, v44
	v_add_f16_e32 v47, v47, v50
	v_mul_f16_e64 v50, 0xbbc4, v191
	v_mul_f16_e64 v61, 0x3b15, v162
	v_sub_f16_e64 v58, v58, v154
	v_add_f16_e32 v49, v62, v49
	v_mul_f16_e64 v62, 0xb9fd, v199
	v_add_f16_e64 v50, v201, v50
	v_sub_f16_e64 v61, v61, v173
	v_add_f16_e32 v46, v58, v46
	v_mul_f16_e64 v58, 0x2fb7, v157
	v_add_f16_e64 v62, v211, v62
	v_add_f16_e32 v47, v50, v47
	v_mul_f16_e64 v50, 0xb9fd, v194
	v_add_f16_e32 v44, v61, v44
	v_sub_f16_e64 v58, v58, v156
	v_mul_f16_e64 v61, 0x388b, v166
	v_add_f16_e32 v49, v62, v49
	v_add_f16_e64 v50, v203, v50
	v_mul_f16_e64 v62, 0x2fb7, v166
	v_add_f16_e32 v46, v58, v46
	v_mul_f16_e64 v58, 0xb5ac, v162
	v_sub_f16_e64 v61, v61, v172
	v_add_f16_e32 v47, v50, v47
	v_mul_f16_e64 v50, 0x2fb7, v197
	v_add_f16_e32 v24, v98, v24
	v_sub_f16_e64 v58, v58, v161
	v_add_f16_e32 v44, v61, v44
	v_mul_f16_e64 v61, 0xb9fd, v169
	v_add_f16_e64 v50, v205, v50
	v_pack_b32_f16 v23, v23, v24
	v_add_f16_e32 v46, v58, v46
	v_mul_f16_e64 v58, 0x3b15, v169
	v_sub_f16_e64 v61, v61, v171
	v_add_f16_e32 v47, v50, v47
	v_mul_f16_e32 v50, 0x3b15, v60
	v_mul_f16_e64 v60, 0xb5ac, v153
	v_sub_f16_e64 v58, v58, v170
	v_add_f16_e32 v44, v61, v44
	v_perm_b32 v24, v105, v53, 0x5040100
	v_add_f16_e32 v50, v59, v50
	v_sub_f16_e64 v60, v60, v155
	v_mul_f16_e64 v59, 0x3b15, v199
	v_perm_b32 v61, v184, v54, 0x5040100
	v_pack_b32_f16 v43, v43, v48
	v_add_f16_e64 v50, v151, v50
	v_add_f16_e32 v45, v60, v45
	v_mul_f16_e64 v60, 0xbbc4, v157
	v_add_f16_e64 v59, v208, v59
	v_pack_b32_f16 v44, v44, v49
	v_add_f16_e32 v50, v57, v50
	v_mul_f16_e64 v57, 0x2fb7, v191
	v_sub_f16_e64 v60, v60, v159
	v_add_f16_e32 v47, v59, v47
	v_perm_b32 v59, v183, v52, 0x5040100
	s_delay_alu instid0(VALU_DEP_4) | instskip(NEXT) | instid1(VALU_DEP_4)
	v_add_f16_e64 v57, v190, v57
	v_add_f16_e32 v45, v60, v45
	v_mul_f16_e64 v60, 0xb9fd, v162
	s_delay_alu instid0(VALU_DEP_3) | instskip(SKIP_1) | instid1(VALU_DEP_3)
	v_add_f16_e32 v50, v57, v50
	v_mul_f16_e64 v57, 0xb5ac, v194
	v_sub_f16_e64 v60, v60, v163
	s_delay_alu instid0(VALU_DEP_2) | instskip(NEXT) | instid1(VALU_DEP_2)
	v_add_f16_e64 v57, v193, v57
	v_add_f16_e32 v45, v60, v45
	v_sub_f16_e64 v60, v62, v167
	v_mul_f16_e64 v62, 0xb9fd, v166
	s_delay_alu instid0(VALU_DEP_4) | instskip(SKIP_2) | instid1(VALU_DEP_4)
	v_add_f16_e32 v50, v57, v50
	v_add_f16_e64 v57, v196, v63
	v_mul_f16_e64 v63, 0xbbc4, v199
	v_sub_f16_e64 v62, v62, v165
	v_add_f16_e32 v45, v60, v45
	v_mul_f16_e64 v60, 0xbbc4, v169
	v_add_f16_e32 v50, v57, v50
	v_add_f16_e64 v57, v198, v63
	v_add_f16_e32 v46, v62, v46
	v_add_f16_e32 v45, v58, v45
	v_sub_f16_e64 v60, v60, v168
	v_perm_b32 v58, v66, v51, 0x5040100
	v_add_f16_e32 v50, v57, v50
	scratch_load_b32 v57, off, off offset:4 th:TH_LOAD_LU ; 4-byte Folded Reload
	v_perm_b32 v62, v189, v188, 0x5040100
	v_add_f16_e32 v46, v60, v46
	v_perm_b32 v60, v186, v55, 0x5040100
	v_perm_b32 v63, v187, v56, 0x5040100
	v_pack_b32_f16 v26, v45, v47
	s_delay_alu instid0(VALU_DEP_4)
	v_pack_b32_f16 v45, v46, v50
	s_wait_loadcnt 0x0
	v_lshl_add_u32 v57, v57, 2, v95
	ds_store_2addr_b32 v57, v23, v58 offset1:1
	ds_store_2addr_b32 v57, v59, v24 offset0:2 offset1:3
	ds_store_2addr_b32 v57, v61, v60 offset0:4 offset1:5
	;; [unrolled: 1-line block ×5, first 2 shown]
	ds_store_b32 v57, v45 offset:48
.LBB0_17:
	s_wait_alu 0xfffe
	s_or_b32 exec_lo, exec_lo, s1
	v_add_nc_u32_e32 v25, 0x400, v67
	v_add_nc_u32_e32 v59, 0x200, v67
	;; [unrolled: 1-line block ×6, first 2 shown]
	global_wb scope:SCOPE_SE
	s_wait_dscnt 0x0
	s_barrier_signal -1
	s_barrier_wait -1
	global_inv scope:SCOPE_SE
	ds_load_2addr_b32 v[23:24], v67 offset1:91
	ds_load_2addr_b32 v[57:58], v59 offset0:67 offset1:158
	ds_load_2addr_b32 v[49:50], v25 offset0:134 offset1:225
	;; [unrolled: 1-line block ×6, first 2 shown]
	s_and_saveexec_b32 s1, s0
	s_cbranch_execz .LBB0_19
; %bb.18:
	v_add_nc_u32_e32 v55, 0xf00, v67
	ds_load_2addr_b32 v[51:52], v59 offset0:54 offset1:249
	ds_load_2addr_b32 v[53:54], v60 offset0:60 offset1:255
	;; [unrolled: 1-line block ×3, first 2 shown]
	ds_load_b32 v188, v67 offset:5408
	s_wait_dscnt 0x3
	v_lshrrev_b32_e32 v66, 16, v51
	v_lshrrev_b32_e32 v183, 16, v52
	s_wait_dscnt 0x2
	v_lshrrev_b32_e32 v105, 16, v53
	v_lshrrev_b32_e32 v184, 16, v54
	;; [unrolled: 3-line block ×3, first 2 shown]
	s_wait_dscnt 0x0
	v_lshrrev_b32_e32 v189, 16, v188
.LBB0_19:
	s_wait_alu 0xfffe
	s_or_b32 exec_lo, exec_lo, s1
	s_wait_dscnt 0x5
	v_lshrrev_b32_e32 v63, 16, v57
	s_wait_dscnt 0x4
	v_lshrrev_b32_e32 v64, 16, v49
	;; [unrolled: 2-line block ×5, first 2 shown]
	v_mul_f16_e32 v98, v126, v63
	v_mul_f16_e32 v99, v126, v57
	;; [unrolled: 1-line block ×4, first 2 shown]
	s_wait_dscnt 0x0
	v_lshrrev_b32_e32 v73, 16, v25
	v_lshrrev_b32_e32 v77, 16, v58
	v_fmac_f16_e32 v98, v8, v57
	v_fma_f16 v8, v8, v63, -v99
	v_fmac_f16_e32 v100, v9, v49
	v_fma_f16 v9, v9, v64, -v101
	v_mul_f16_e32 v49, v124, v65
	v_mul_f16_e32 v57, v124, v47
	;; [unrolled: 1-line block ×5, first 2 shown]
	v_lshrrev_b32_e32 v80, 16, v50
	v_lshrrev_b32_e32 v82, 16, v48
	;; [unrolled: 1-line block ×3, first 2 shown]
	v_fmac_f16_e32 v49, v10, v47
	v_fma_f16 v10, v10, v65, -v57
	v_fmac_f16_e32 v63, v11, v45
	v_fma_f16 v11, v11, v70, -v64
	v_fmac_f16_e32 v99, v31, v43
	v_mul_f16_e32 v43, v122, v43
	v_mul_f16_e32 v45, v121, v73
	;; [unrolled: 1-line block ×5, first 2 shown]
	v_lshrrev_b32_e32 v97, 16, v44
	v_lshrrev_b32_e32 v102, 16, v26
	v_fma_f16 v31, v31, v71, -v43
	v_fmac_f16_e32 v45, v32, v25
	v_fma_f16 v25, v32, v73, -v47
	v_fmac_f16_e32 v57, v4, v58
	v_fma_f16 v4, v4, v77, -v64
	v_mul_f16_e32 v32, v119, v80
	v_mul_f16_e32 v43, v119, v50
	;; [unrolled: 1-line block ×5, first 2 shown]
	v_fmac_f16_e32 v32, v5, v50
	v_fma_f16 v5, v5, v80, -v43
	v_fmac_f16_e32 v47, v6, v48
	v_fma_f16 v6, v6, v82, -v58
	v_fmac_f16_e32 v64, v7, v46
	v_mul_f16_e32 v43, v117, v46
	v_mul_f16_e32 v46, v116, v97
	;; [unrolled: 1-line block ×5, first 2 shown]
	v_fma_f16 v7, v7, v84, -v43
	v_fmac_f16_e32 v46, v29, v44
	v_fmac_f16_e32 v50, v30, v26
	v_fma_f16 v26, v30, v102, -v58
	v_add_f16_e32 v30, v98, v45
	v_add_f16_e32 v43, v8, v25
	v_sub_f16_e32 v44, v98, v45
	v_sub_f16_e32 v8, v8, v25
	v_add_f16_e32 v25, v100, v99
	v_add_f16_e32 v45, v9, v31
	v_fma_f16 v29, v29, v97, -v48
	v_sub_f16_e32 v48, v100, v99
	v_sub_f16_e32 v9, v9, v31
	v_add_f16_e32 v31, v49, v63
	v_add_f16_e32 v58, v10, v11
	v_sub_f16_e32 v49, v63, v49
	v_sub_f16_e32 v10, v11, v10
	v_add_f16_e32 v11, v25, v30
	v_add_f16_e32 v63, v45, v43
	v_lshrrev_b32_e32 v62, 16, v23
	v_sub_f16_e32 v65, v25, v30
	v_sub_f16_e32 v70, v45, v43
	;; [unrolled: 1-line block ×6, first 2 shown]
	v_add_f16_e32 v71, v49, v48
	v_add_f16_e32 v73, v10, v9
	v_sub_f16_e32 v77, v49, v48
	v_sub_f16_e32 v80, v10, v9
	;; [unrolled: 1-line block ×3, first 2 shown]
	v_add_f16_e32 v11, v31, v11
	v_add_f16_e32 v31, v58, v63
	v_sub_f16_e32 v9, v9, v8
	v_sub_f16_e32 v49, v44, v49
	;; [unrolled: 1-line block ×3, first 2 shown]
	v_add_f16_e32 v44, v71, v44
	v_add_f16_e32 v8, v73, v8
	;; [unrolled: 1-line block ×4, first 2 shown]
	v_mul_f16_e32 v30, 0x3a52, v30
	v_mul_f16_e32 v43, 0x3a52, v43
	;; [unrolled: 1-line block ×8, first 2 shown]
	v_fmamk_f16 v11, v11, 0xbcab, v23
	v_fmamk_f16 v31, v31, 0xbcab, v58
	;; [unrolled: 1-line block ×4, first 2 shown]
	v_fma_f16 v62, v65, 0x39e0, -v62
	v_fma_f16 v63, v70, 0x39e0, -v63
	;; [unrolled: 1-line block ×4, first 2 shown]
	v_fmamk_f16 v65, v49, 0xb574, v71
	v_fmamk_f16 v70, v10, 0xb574, v73
	v_fma_f16 v49, v49, 0x3574, -v77
	v_fma_f16 v10, v10, 0x3574, -v80
	;; [unrolled: 1-line block ×4, first 2 shown]
	v_add_f16_e32 v25, v25, v11
	v_add_f16_e32 v45, v45, v31
	;; [unrolled: 1-line block ×5, first 2 shown]
	v_fmac_f16_e32 v65, 0xb70e, v44
	v_fmac_f16_e32 v10, 0xb70e, v8
	;; [unrolled: 1-line block ×3, first 2 shown]
	v_add_f16_e32 v63, v63, v31
	v_fmac_f16_e32 v48, 0xb70e, v44
	v_fmac_f16_e32 v9, 0xb70e, v8
	v_sub_f16_e32 v31, v45, v65
	v_add_f16_e32 v43, v10, v11
	v_sub_f16_e32 v44, v30, v49
	v_sub_f16_e32 v10, v11, v10
	v_add_f16_e32 v11, v49, v30
	v_add_f16_e32 v30, v65, v45
	;; [unrolled: 1-line block ×4, first 2 shown]
	v_sub_f16_e32 v50, v57, v50
	v_sub_f16_e32 v4, v4, v26
	v_add_f16_e32 v26, v32, v46
	v_add_f16_e32 v57, v5, v29
	v_fmac_f16_e32 v70, 0xb70e, v8
	v_sub_f16_e32 v71, v62, v9
	v_add_f16_e32 v9, v9, v62
	v_sub_f16_e32 v32, v32, v46
	v_sub_f16_e32 v5, v5, v29
	v_add_f16_e32 v29, v47, v64
	v_add_f16_e32 v46, v6, v7
	v_sub_f16_e32 v47, v64, v47
	v_sub_f16_e32 v6, v7, v6
	v_add_f16_e32 v7, v26, v45
	v_add_f16_e32 v62, v57, v49
	v_lshrrev_b32_e32 v75, 16, v24
	v_add_f16_e32 v8, v70, v25
	v_add_f16_e32 v73, v48, v63
	v_sub_f16_e32 v48, v63, v48
	v_sub_f16_e32 v25, v25, v70
	;; [unrolled: 1-line block ×8, first 2 shown]
	v_add_f16_e32 v65, v47, v32
	v_add_f16_e32 v70, v6, v5
	v_sub_f16_e32 v77, v47, v32
	v_sub_f16_e32 v80, v6, v5
	v_add_f16_e32 v7, v29, v7
	v_add_f16_e32 v29, v46, v62
	v_sub_f16_e32 v32, v32, v50
	v_sub_f16_e32 v5, v5, v4
	;; [unrolled: 1-line block ×4, first 2 shown]
	v_add_f16_e32 v46, v65, v50
	v_add_f16_e32 v4, v70, v4
	;; [unrolled: 1-line block ×4, first 2 shown]
	v_mul_f16_e32 v45, 0x3a52, v45
	v_mul_f16_e32 v49, 0x3a52, v49
	;; [unrolled: 1-line block ×8, first 2 shown]
	v_fmamk_f16 v7, v7, 0xbcab, v24
	v_fmamk_f16 v29, v29, 0xbcab, v50
	;; [unrolled: 1-line block ×4, first 2 shown]
	v_fma_f16 v62, v63, 0x39e0, -v62
	v_fma_f16 v65, v64, 0x39e0, -v65
	;; [unrolled: 1-line block ×4, first 2 shown]
	v_fmamk_f16 v63, v47, 0xb574, v70
	v_fmamk_f16 v64, v6, 0xb574, v75
	v_fma_f16 v32, v32, 0xbb00, -v70
	v_fma_f16 v5, v5, 0xbb00, -v75
	v_fma_f16 v47, v47, 0x3574, -v77
	v_fma_f16 v6, v6, 0x3574, -v80
	v_add_f16_e32 v26, v26, v7
	v_add_f16_e32 v57, v57, v29
	v_fmac_f16_e32 v63, 0xb70e, v46
	v_fmac_f16_e32 v64, 0xb70e, v4
	v_add_f16_e32 v62, v62, v7
	v_add_f16_e32 v65, v65, v29
	;; [unrolled: 1-line block ×4, first 2 shown]
	v_fmac_f16_e32 v32, 0xb70e, v46
	v_fmac_f16_e32 v6, 0xb70e, v4
	;; [unrolled: 1-line block ×4, first 2 shown]
	v_pack_b32_f16 v23, v23, v58
	v_pack_b32_f16 v8, v8, v31
	v_add_f16_e32 v4, v64, v26
	v_sub_f16_e32 v45, v57, v63
	v_pack_b32_f16 v31, v43, v44
	v_pack_b32_f16 v43, v71, v73
	v_add_f16_e32 v46, v6, v7
	v_sub_f16_e32 v49, v29, v47
	v_sub_f16_e32 v70, v62, v5
	v_add_f16_e32 v75, v32, v65
	v_pack_b32_f16 v9, v9, v48
	v_pack_b32_f16 v10, v10, v11
	v_add_f16_e32 v5, v5, v62
	v_sub_f16_e32 v32, v65, v32
	v_sub_f16_e32 v6, v7, v6
	v_add_f16_e32 v7, v47, v29
	v_sub_f16_e32 v26, v26, v64
	v_add_f16_e32 v29, v63, v57
	v_add_nc_u32_e32 v61, 0x2d8, v67
	v_add_nc_u32_e32 v60, 0x444, v67
	;; [unrolled: 1-line block ×3, first 2 shown]
	global_wb scope:SCOPE_SE
	s_barrier_signal -1
	s_barrier_wait -1
	global_inv scope:SCOPE_SE
	ds_store_2addr_b32 v112, v23, v8 offset1:13
	ds_store_2addr_b32 v112, v31, v43 offset0:26 offset1:39
	ds_store_2addr_b32 v112, v9, v10 offset0:52 offset1:65
	v_pack_b32_f16 v8, v25, v30
	v_pack_b32_f16 v9, v24, v50
	;; [unrolled: 1-line block ×8, first 2 shown]
	ds_store_b32 v112, v8 offset:312
	ds_store_2addr_b32 v111, v9, v4 offset1:13
	ds_store_2addr_b32 v111, v10, v11 offset0:26 offset1:39
	ds_store_2addr_b32 v111, v5, v6 offset0:52 offset1:65
	ds_store_b32 v111, v7 offset:312
	s_and_saveexec_b32 s1, s0
	s_cbranch_execz .LBB0_21
; %bb.20:
	v_mul_f16_e64 v4, v110, v183
	v_mul_f16_e32 v7, v108, v105
	v_mul_f16_e64 v8, v109, v187
	v_mul_f16_e64 v23, v113, v188
	v_mul_f16_e32 v26, v110, v52
	v_mul_f16_e32 v29, v109, v56
	;; [unrolled: 1-line block ×3, first 2 shown]
	v_mul_f16_e64 v5, v107, v186
	v_mul_f16_e64 v6, v106, v184
	;; [unrolled: 1-line block ×3, first 2 shown]
	v_fmac_f16_e32 v7, v1, v53
	v_fmac_f16_e32 v8, v27, v56
	;; [unrolled: 1-line block ×3, first 2 shown]
	v_fma_f16 v23, v28, v189, -v23
	v_fma_f16 v0, v0, v183, -v26
	v_mul_f16_e32 v26, v106, v54
	v_mul_f16_e32 v31, v107, v55
	v_fma_f16 v27, v27, v187, -v29
	v_fma_f16 v1, v1, v105, -v30
	v_fmac_f16_e32 v5, v3, v55
	v_fmac_f16_e32 v6, v2, v54
	v_fmac_f16_e64 v9, v28, v188
	v_add_f16_e32 v29, v23, v0
	v_fma_f16 v2, v2, v184, -v26
	v_fma_f16 v3, v3, v186, -v31
	v_add_f16_e32 v26, v27, v1
	v_sub_f16_e32 v10, v5, v6
	v_sub_f16_e32 v11, v7, v8
	;; [unrolled: 1-line block ×3, first 2 shown]
	v_add_f16_e32 v31, v3, v2
	v_add_f16_e32 v32, v26, v29
	;; [unrolled: 1-line block ×5, first 2 shown]
	v_sub_f16_e32 v25, v10, v11
	v_sub_f16_e32 v43, v29, v31
	v_add_f16_e32 v32, v31, v32
	v_sub_f16_e32 v8, v31, v26
	v_add_f16_e32 v31, v7, v4
	v_sub_f16_e32 v44, v4, v5
	v_sub_f16_e32 v28, v24, v10
	v_mul_f16_e32 v25, 0x3846, v25
	v_add_f16_e32 v10, v10, v11
	v_mul_f16_e32 v9, 0x3a52, v43
	v_add_f16_e32 v6, v66, v32
	v_mul_f16_e32 v43, 0x2b26, v8
	v_add_f16_e32 v31, v5, v31
	v_sub_f16_e32 v2, v3, v2
	v_mul_f16_e32 v3, 0x3a52, v44
	v_sub_f16_e32 v5, v5, v7
	v_sub_f16_e32 v11, v11, v24
	;; [unrolled: 1-line block ×3, first 2 shown]
	v_add_f16_e32 v10, v10, v24
	v_fmamk_f16 v32, v32, 0xbcab, v6
	v_fmamk_f16 v44, v5, 0x2b26, v3
	v_mul_f16_e32 v5, 0x2b26, v5
	v_mul_f16_e32 v47, 0xbb00, v11
	v_sub_f16_e32 v4, v7, v4
	v_fma_f16 v7, v26, 0xb9e0, -v9
	v_fma_f16 v26, v26, 0x39e0, -v43
	v_fma_f16 v11, v11, 0xbb00, -v25
	v_fmamk_f16 v30, v28, 0xb574, v25
	v_fma_f16 v3, v4, 0xb9e0, -v3
	v_fma_f16 v4, v4, 0x39e0, -v5
	v_add_f16_e32 v5, v26, v32
	v_fmac_f16_e32 v11, 0xb70e, v10
	v_sub_f16_e32 v1, v1, v27
	v_sub_f16_e32 v0, v0, v23
	v_add_f16_e32 v27, v51, v31
	v_fmamk_f16 v8, v8, 0x2b26, v9
	v_sub_f16_e32 v25, v5, v11
	v_add_f16_e32 v5, v11, v5
	scratch_load_b32 v11, off, off th:TH_LOAD_LU ; 4-byte Folded Reload
	v_sub_f16_e32 v23, v2, v1
	v_sub_f16_e32 v45, v0, v2
	v_add_f16_e32 v2, v2, v1
	v_sub_f16_e32 v1, v1, v0
	v_fmamk_f16 v31, v31, 0xbcab, v27
	v_mul_f16_e32 v23, 0x3846, v23
	v_fmac_f16_e32 v30, 0xb70e, v10
	v_add_f16_e32 v0, v2, v0
	v_mul_f16_e32 v9, 0xbb00, v1
	v_add_f16_e32 v24, v44, v31
	v_fmamk_f16 v44, v45, 0xb574, v23
	v_fma_f16 v2, v28, 0x3574, -v47
	v_fma_f16 v1, v1, 0xbb00, -v23
	;; [unrolled: 1-line block ×3, first 2 shown]
	v_add_f16_e32 v8, v8, v32
	v_fmac_f16_e32 v44, 0xb70e, v0
	v_fmac_f16_e32 v2, 0xb70e, v10
	v_add_f16_e32 v7, v7, v32
	v_add_f16_e32 v3, v3, v31
	v_fmac_f16_e32 v9, 0xb70e, v0
	v_fmac_f16_e32 v1, 0xb70e, v0
	v_add_f16_e32 v0, v4, v31
	v_add_f16_e32 v46, v30, v8
	;; [unrolled: 1-line block ×3, first 2 shown]
	v_sub_f16_e32 v2, v7, v2
	v_sub_f16_e32 v7, v8, v30
	v_add_f16_e32 v8, v44, v24
	v_sub_f16_e32 v23, v3, v9
	v_add_f16_e32 v26, v1, v0
	v_add_f16_e32 v3, v9, v3
	v_sub_f16_e32 v0, v0, v1
	v_sub_f16_e32 v4, v24, v44
	v_pack_b32_f16 v1, v27, v6
	v_pack_b32_f16 v6, v8, v7
	;; [unrolled: 1-line block ×7, first 2 shown]
	s_wait_loadcnt 0x0
	v_lshl_add_u32 v11, v11, 2, v95
	s_delay_alu instid0(VALU_DEP_1)
	v_add_nc_u32_e32 v7, 0x1200, v11
	v_add_nc_u32_e32 v3, 0x1400, v11
	ds_store_2addr_b32 v7, v1, v6 offset0:122 offset1:135
	ds_store_2addr_b32 v3, v2, v0 offset0:20 offset1:33
	;; [unrolled: 1-line block ×3, first 2 shown]
	ds_store_b32 v11, v4 offset:5408
.LBB0_21:
	s_wait_alu 0xfffe
	s_or_b32 exec_lo, exec_lo, s1
	v_add_nc_u32_e32 v6, 0x200, v67
	global_wb scope:SCOPE_SE
	s_wait_dscnt 0x0
	s_barrier_signal -1
	s_barrier_wait -1
	global_inv scope:SCOPE_SE
	v_add_nc_u32_e32 v4, 0x800, v67
	ds_load_2addr_b32 v[9:10], v6 offset0:54 offset1:145
	v_add_nc_u32_e32 v0, 0xa00, v67
	v_add_nc_u32_e32 v2, 0x1000, v67
	;; [unrolled: 1-line block ×3, first 2 shown]
	ds_load_2addr_b32 v[23:24], v4 offset0:34 offset1:125
	v_add_nc_u32_e32 v3, 0xc00, v67
	ds_load_2addr_b32 v[7:8], v67 offset1:91
	ds_load_2addr_b32 v[25:26], v0 offset0:88 offset1:179
	ds_load_2addr_b32 v[27:28], v2 offset0:68 offset1:159
	;; [unrolled: 1-line block ×4, first 2 shown]
	ds_load_b32 v1, v67 offset:5096
	global_wb scope:SCOPE_SE
	s_wait_dscnt 0x0
	s_barrier_signal -1
	s_barrier_wait -1
	global_inv scope:SCOPE_SE
	s_mov_b32 s8, 0x18018018
	s_mov_b32 s9, 0x3f480180
	v_lshrrev_b32_e32 v44, 16, v10
	v_mul_f16_e64 v58, v140, v10
	v_lshrrev_b32_e32 v52, 16, v9
	v_lshrrev_b32_e32 v46, 16, v26
	;; [unrolled: 1-line block ×4, first 2 shown]
	v_mul_f16_e64 v57, v140, v44
	v_lshrrev_b32_e32 v47, 16, v27
	v_lshrrev_b32_e32 v49, 16, v24
	v_mul_f16_e64 v62, v139, v45
	v_mul_f16_e64 v63, v139, v23
	;; [unrolled: 1-line block ×3, first 2 shown]
	v_fmac_f16_e32 v57, v12, v10
	v_fma_f16 v10, v12, v44, -v58
	v_mul_f16_e64 v58, v140, v48
	v_lshrrev_b32_e32 v50, 16, v31
	v_lshrrev_b32_e32 v51, 16, v28
	v_fmac_f16_e32 v62, v13, v23
	v_fma_f16 v23, v13, v45, -v63
	v_fmac_f16_e32 v64, v14, v26
	v_mul_f16_e64 v26, v138, v26
	v_mul_f16_e64 v44, v137, v47
	;; [unrolled: 1-line block ×4, first 2 shown]
	v_fmac_f16_e32 v58, v12, v29
	v_mul_f16_e64 v29, v139, v49
	v_lshrrev_b32_e32 v53, 16, v30
	v_lshrrev_b32_e32 v54, 16, v25
	v_fma_f16 v26, v14, v46, -v26
	v_fmac_f16_e32 v44, v15, v27
	v_fma_f16 v27, v15, v47, -v45
	v_fma_f16 v12, v12, v48, -v63
	v_mul_f16_e64 v45, v139, v24
	v_mul_f16_e64 v46, v138, v50
	;; [unrolled: 1-line block ×4, first 2 shown]
	v_fmac_f16_e32 v29, v13, v24
	v_mul_f16_e64 v24, v137, v28
	v_lshrrev_b32_e32 v55, 16, v32
	v_fma_f16 v13, v13, v49, -v45
	v_fmac_f16_e32 v46, v14, v31
	v_fma_f16 v14, v14, v50, -v47
	v_fmac_f16_e32 v48, v15, v28
	v_mul_f16_e64 v28, v144, v53
	v_mul_f16_e64 v45, v143, v54
	;; [unrolled: 1-line block ×3, first 2 shown]
	v_fma_f16 v15, v15, v51, -v24
	v_add_f16_e32 v24, v62, v64
	v_lshrrev_b32_e32 v56, 16, v1
	v_mul_f16_e64 v31, v144, v30
	v_fmac_f16_e32 v28, v16, v30
	v_fmac_f16_e32 v45, v17, v25
	v_fma_f16 v17, v17, v54, -v47
	v_mul_f16_e64 v25, v142, v55
	v_mul_f16_e64 v30, v142, v32
	v_add_f16_e32 v47, v7, v57
	v_fma_f16 v24, -0.5, v24, v7
	v_sub_f16_e32 v49, v10, v27
	v_lshrrev_b32_e32 v11, 16, v7
	v_fma_f16 v16, v16, v53, -v31
	v_mul_f16_e64 v31, v141, v56
	v_fmac_f16_e32 v25, v18, v32
	v_fma_f16 v18, v18, v55, -v30
	v_add_f16_e32 v30, v47, v62
	v_fmamk_f16 v32, v49, 0xbb9c, v24
	v_sub_f16_e32 v47, v23, v26
	v_sub_f16_e32 v50, v57, v62
	;; [unrolled: 1-line block ×3, first 2 shown]
	v_add_f16_e32 v53, v57, v44
	v_fmac_f16_e32 v24, 0x3b9c, v49
	v_fmac_f16_e32 v31, v19, v1
	v_mul_f16_e64 v1, v141, v1
	v_add_f16_e32 v30, v30, v64
	v_fmac_f16_e32 v32, 0xb8b4, v47
	v_add_f16_e32 v50, v50, v51
	v_fma_f16 v7, -0.5, v53, v7
	v_sub_f16_e32 v51, v62, v57
	v_sub_f16_e32 v53, v64, v44
	v_fmac_f16_e32 v24, 0x38b4, v47
	v_add_f16_e32 v54, v11, v10
	v_add_f16_e32 v55, v23, v26
	v_fma_f16 v1, v19, v56, -v1
	v_add_f16_e32 v19, v30, v44
	v_fmac_f16_e32 v32, 0x34f2, v50
	v_fmamk_f16 v30, v47, 0x3b9c, v7
	v_add_f16_e32 v51, v51, v53
	v_fmac_f16_e32 v7, 0xbb9c, v47
	v_add_f16_e32 v47, v54, v23
	v_fma_f16 v53, -0.5, v55, v11
	v_sub_f16_e32 v44, v57, v44
	v_fmac_f16_e32 v24, 0x34f2, v50
	v_add_f16_e32 v50, v10, v27
	v_sub_f16_e32 v55, v10, v23
	v_sub_f16_e32 v10, v23, v10
	;; [unrolled: 1-line block ×3, first 2 shown]
	v_fmac_f16_e32 v30, 0xb8b4, v49
	v_fmac_f16_e32 v7, 0x38b4, v49
	v_add_f16_e32 v47, v47, v26
	v_fmamk_f16 v49, v44, 0x3b9c, v53
	v_sub_f16_e32 v54, v62, v64
	v_sub_f16_e32 v56, v27, v26
	v_fmac_f16_e32 v11, -0.5, v50
	v_fmac_f16_e32 v53, 0xbb9c, v44
	v_add_f16_e32 v26, v29, v46
	v_add_f16_e32 v10, v10, v23
	;; [unrolled: 1-line block ×3, first 2 shown]
	v_lshrrev_b32_e32 v43, 16, v8
	v_fmac_f16_e32 v30, 0x34f2, v51
	v_fmac_f16_e32 v7, 0x34f2, v51
	v_add_f16_e32 v47, v47, v27
	v_fmac_f16_e32 v49, 0x38b4, v54
	v_add_f16_e32 v50, v55, v56
	v_fmamk_f16 v51, v54, 0xbb9c, v11
	v_fmac_f16_e32 v53, 0xb8b4, v54
	v_fma_f16 v26, -0.5, v26, v8
	v_sub_f16_e32 v27, v12, v15
	v_fmac_f16_e32 v11, 0x3b9c, v54
	v_add_f16_e32 v23, v23, v29
	v_add_f16_e32 v57, v58, v48
	v_fmac_f16_e32 v49, 0x34f2, v50
	v_fmac_f16_e32 v51, 0x38b4, v44
	;; [unrolled: 1-line block ×3, first 2 shown]
	v_fmamk_f16 v50, v27, 0xbb9c, v26
	v_sub_f16_e32 v54, v13, v14
	v_sub_f16_e32 v55, v58, v29
	;; [unrolled: 1-line block ×3, first 2 shown]
	v_fmac_f16_e32 v11, 0xb8b4, v44
	v_add_f16_e32 v23, v23, v46
	v_fmac_f16_e32 v8, -0.5, v57
	v_fmac_f16_e32 v26, 0x3b9c, v27
	v_add_f16_e32 v57, v43, v12
	v_fmac_f16_e32 v51, 0x34f2, v10
	v_fmac_f16_e32 v50, 0xb8b4, v54
	v_add_f16_e32 v44, v55, v56
	v_fmac_f16_e32 v11, 0x34f2, v10
	v_add_f16_e32 v10, v23, v48
	v_fmamk_f16 v23, v54, 0x3b9c, v8
	v_sub_f16_e32 v55, v29, v58
	v_sub_f16_e32 v56, v46, v48
	v_fmac_f16_e32 v26, 0x38b4, v54
	v_add_f16_e32 v62, v13, v14
	v_fmac_f16_e32 v8, 0xbb9c, v54
	v_add_f16_e32 v54, v57, v13
	;; [unrolled: 2-line block ×3, first 2 shown]
	v_fma_f16 v56, -0.5, v62, v43
	v_sub_f16_e32 v48, v58, v48
	v_fmac_f16_e32 v8, 0x38b4, v27
	v_add_f16_e32 v27, v54, v14
	v_add_f16_e32 v54, v12, v15
	v_fmac_f16_e32 v50, 0x34f2, v44
	v_fmac_f16_e32 v26, 0x34f2, v44
	v_fmamk_f16 v44, v48, 0x3b9c, v56
	v_sub_f16_e32 v29, v29, v46
	v_sub_f16_e32 v46, v12, v13
	v_sub_f16_e32 v57, v15, v14
	v_fmac_f16_e32 v43, -0.5, v54
	v_fmac_f16_e32 v56, 0xbb9c, v48
	v_sub_f16_e32 v12, v13, v12
	v_sub_f16_e32 v13, v14, v15
	v_add_f16_e32 v14, v45, v25
	v_add_f16_e32 v27, v27, v15
	v_fmac_f16_e32 v44, 0x38b4, v29
	v_add_f16_e32 v46, v46, v57
	v_fmamk_f16 v54, v29, 0xbb9c, v43
	v_fmac_f16_e32 v56, 0xb8b4, v29
	v_add_f16_e32 v12, v12, v13
	v_fmac_f16_e32 v43, 0x3b9c, v29
	v_add_f16_e32 v13, v9, v28
	v_fma_f16 v14, -0.5, v14, v9
	v_sub_f16_e32 v15, v16, v1
	v_fmac_f16_e32 v23, 0x34f2, v55
	v_fmac_f16_e32 v8, 0x34f2, v55
	;; [unrolled: 1-line block ×6, first 2 shown]
	v_add_f16_e32 v13, v13, v45
	v_fmamk_f16 v29, v15, 0xbb9c, v14
	v_sub_f16_e32 v46, v17, v18
	v_sub_f16_e32 v48, v28, v45
	;; [unrolled: 1-line block ×3, first 2 shown]
	v_fmac_f16_e32 v14, 0x3b9c, v15
	v_add_f16_e32 v57, v28, v31
	v_add_f16_e32 v13, v13, v25
	v_fmac_f16_e32 v29, 0xb8b4, v46
	v_add_f16_e32 v48, v48, v55
	v_fmac_f16_e32 v14, 0x38b4, v46
	v_fmac_f16_e32 v9, -0.5, v57
	v_sub_f16_e32 v55, v45, v28
	v_sub_f16_e32 v57, v25, v31
	v_fmac_f16_e32 v54, 0x34f2, v12
	v_fmac_f16_e32 v43, 0x34f2, v12
	v_add_f16_e32 v12, v13, v31
	v_fmac_f16_e32 v29, 0x34f2, v48
	v_fmac_f16_e32 v14, 0x34f2, v48
	v_fmamk_f16 v13, v46, 0x3b9c, v9
	v_add_f16_e32 v48, v17, v18
	v_fmac_f16_e32 v9, 0xbb9c, v46
	v_sub_f16_e32 v28, v28, v31
	v_add_f16_e32 v31, v55, v57
	v_add_f16_e32 v55, v16, v1
	;; [unrolled: 1-line block ×3, first 2 shown]
	v_fma_f16 v48, -0.5, v48, v52
	v_fmac_f16_e32 v13, 0xb8b4, v15
	v_fmac_f16_e32 v9, 0x38b4, v15
	v_sub_f16_e32 v25, v45, v25
	v_fmac_f16_e32 v52, -0.5, v55
	v_add_f16_e32 v15, v46, v17
	v_fmac_f16_e32 v13, 0x34f2, v31
	v_fmac_f16_e32 v9, 0x34f2, v31
	v_sub_f16_e32 v31, v16, v17
	v_fmamk_f16 v55, v25, 0xbb9c, v52
	v_sub_f16_e32 v16, v17, v16
	v_sub_f16_e32 v17, v18, v1
	v_fmac_f16_e32 v52, 0x3b9c, v25
	v_fmamk_f16 v46, v28, 0x3b9c, v48
	v_sub_f16_e32 v45, v1, v18
	v_fmac_f16_e32 v48, 0xbb9c, v28
	v_add_f16_e32 v15, v15, v18
	v_fmac_f16_e32 v55, 0x38b4, v28
	v_add_f16_e32 v16, v16, v17
	v_fmac_f16_e32 v52, 0xb8b4, v28
	v_fmac_f16_e32 v46, 0x38b4, v25
	v_add_f16_e32 v18, v31, v45
	v_fmac_f16_e32 v48, 0xb8b4, v25
	v_add_f16_e32 v1, v15, v1
	v_fmac_f16_e32 v55, 0x34f2, v16
	v_fmac_f16_e32 v52, 0x34f2, v16
	v_pack_b32_f16 v15, v19, v47
	v_pack_b32_f16 v16, v32, v49
	;; [unrolled: 1-line block ×4, first 2 shown]
	v_fmac_f16_e32 v46, 0x34f2, v18
	v_pack_b32_f16 v11, v24, v53
	v_pack_b32_f16 v10, v10, v27
	v_fmac_f16_e32 v48, 0x34f2, v18
	ds_store_2addr_b32 v67, v15, v16 offset1:91
	ds_store_2addr_b32 v6, v17, v7 offset0:54 offset1:145
	ds_store_2addr_b32 v5, v11, v10 offset0:108 offset1:199
	v_pack_b32_f16 v7, v50, v44
	v_pack_b32_f16 v10, v23, v54
	;; [unrolled: 1-line block ×6, first 2 shown]
	v_add_nc_u32_e32 v15, 0xc00, v114
	v_pack_b32_f16 v13, v13, v55
	v_pack_b32_f16 v9, v9, v52
	v_add_nc_u32_e32 v16, 0x1000, v114
	v_pack_b32_f16 v14, v14, v48
	ds_store_2addr_b32 v4, v7, v10 offset0:34 offset1:125
	ds_store_2addr_b32 v0, v8, v11 offset0:88 offset1:179
	;; [unrolled: 1-line block ×4, first 2 shown]
	ds_store_b32 v114, v14 offset:5096
	global_wb scope:SCOPE_SE
	s_wait_dscnt 0x0
	s_barrier_signal -1
	s_barrier_wait -1
	global_inv scope:SCOPE_SE
	ds_load_2addr_b32 v[7:8], v67 offset1:91
	ds_load_2addr_b32 v[9:10], v5 offset0:108 offset1:199
	ds_load_2addr_b32 v[11:12], v3 offset0:142 offset1:233
	;; [unrolled: 1-line block ×6, first 2 shown]
	ds_load_b32 v19, v67 offset:5096
	s_wait_dscnt 0x7
	v_lshrrev_b32_e32 v23, 16, v7
	s_wait_dscnt 0x6
	v_lshrrev_b32_e32 v24, 16, v10
	;; [unrolled: 2-line block ×4, first 2 shown]
	v_mul_f16_e64 v48, v136, v10
	v_lshrrev_b32_e32 v28, 16, v12
	v_mul_f16_e64 v46, v136, v24
	v_mul_f16_e64 v50, v135, v25
	v_lshrrev_b32_e32 v30, 16, v14
	v_fma_f16 v24, v37, v24, -v48
	s_wait_dscnt 0x2
	v_lshrrev_b32_e32 v31, 16, v17
	v_fmac_f16_e32 v46, v37, v10
	v_mul_f16_e64 v10, v135, v11
	v_mul_f16_e64 v37, v134, v27
	v_fmac_f16_e32 v50, v38, v11
	v_mul_f16_e64 v11, v134, v13
	s_wait_dscnt 0x1
	v_lshrrev_b32_e32 v43, 16, v0
	v_fma_f16 v10, v38, v25, -v10
	v_mul_f16_e64 v25, v133, v28
	v_fmac_f16_e32 v37, v39, v13
	v_mul_f16_e64 v13, v133, v12
	v_fma_f16 v11, v39, v27, -v11
	v_mul_f16_e64 v27, v132, v30
	v_fmac_f16_e32 v25, v40, v12
	v_mul_f16_e64 v12, v132, v14
	v_fma_f16 v13, v40, v28, -v13
	v_mul_f16_e64 v28, v131, v31
	v_lshrrev_b32_e32 v44, 16, v18
	v_fmac_f16_e32 v27, v41, v14
	v_mul_f16_e64 v14, v131, v17
	v_lshrrev_b32_e32 v47, 16, v1
	v_fma_f16 v12, v41, v30, -v12
	v_mul_f16_e64 v30, v130, v43
	v_fmac_f16_e32 v28, v42, v17
	v_mul_f16_e64 v17, v130, v0
	v_fma_f16 v14, v42, v31, -v14
	v_mul_f16_e64 v31, v129, v44
	s_wait_dscnt 0x0
	v_lshrrev_b32_e32 v49, 16, v19
	v_fmac_f16_e32 v30, v35, v0
	v_mul_f16_e64 v0, v129, v18
	v_fma_f16 v17, v35, v43, -v17
	v_mul_f16_e64 v35, v128, v47
	v_fmac_f16_e32 v31, v36, v18
	v_mul_f16_e64 v18, v128, v1
	v_fma_f16 v0, v36, v44, -v0
	v_mul_f16_e32 v36, v127, v49
	v_fmac_f16_e32 v35, v33, v1
	v_mul_f16_e32 v1, v127, v19
	v_fma_f16 v18, v33, v47, -v18
	v_add_f16_e32 v33, v46, v50
	v_fmac_f16_e32 v36, v34, v19
	v_add_f16_e32 v19, v7, v46
	v_fma_f16 v1, v34, v49, -v1
	v_add_f16_e32 v34, v24, v10
	v_fma_f16 v7, -0.5, v33, v7
	v_sub_f16_e32 v33, v24, v10
	v_add_f16_e32 v24, v23, v24
	v_lshrrev_b32_e32 v26, 16, v8
	v_fmac_f16_e32 v23, -0.5, v34
	v_sub_f16_e32 v34, v46, v50
	v_fmamk_f16 v38, v33, 0xbaee, v7
	v_add_f16_e32 v10, v24, v10
	v_add_f16_e32 v24, v37, v25
	v_fmac_f16_e32 v7, 0x3aee, v33
	v_fmamk_f16 v33, v34, 0x3aee, v23
	v_add_f16_e32 v39, v8, v37
	v_fmac_f16_e32 v23, 0xbaee, v34
	v_add_f16_e32 v34, v11, v13
	v_fmac_f16_e32 v8, -0.5, v24
	v_sub_f16_e32 v24, v11, v13
	v_add_f16_e32 v11, v26, v11
	v_add_f16_e32 v39, v39, v25
	v_fmac_f16_e32 v26, -0.5, v34
	v_sub_f16_e32 v25, v37, v25
	v_lshrrev_b32_e32 v29, 16, v15
	v_add_f16_e32 v11, v11, v13
	v_add_f16_e32 v13, v27, v28
	v_fmamk_f16 v34, v24, 0xbaee, v8
	v_fmac_f16_e32 v8, 0x3aee, v24
	v_fmamk_f16 v24, v25, 0x3aee, v26
	v_fmac_f16_e32 v26, 0xbaee, v25
	v_add_f16_e32 v25, v12, v14
	v_add_f16_e32 v37, v15, v27
	v_fma_f16 v13, -0.5, v13, v15
	v_sub_f16_e32 v15, v12, v14
	v_add_f16_e32 v12, v29, v12
	v_fmac_f16_e32 v29, -0.5, v25
	v_sub_f16_e32 v25, v27, v28
	v_lshrrev_b32_e32 v32, 16, v16
	v_fmamk_f16 v27, v15, 0xbaee, v13
	v_add_f16_e32 v12, v12, v14
	v_add_f16_e32 v14, v30, v31
	v_fmac_f16_e32 v13, 0x3aee, v15
	v_fmamk_f16 v15, v25, 0x3aee, v29
	v_fmac_f16_e32 v29, 0xbaee, v25
	v_add_f16_e32 v25, v17, v0
	v_add_f16_e32 v37, v37, v28
	;; [unrolled: 1-line block ×3, first 2 shown]
	v_fmac_f16_e32 v16, -0.5, v14
	v_sub_f16_e32 v14, v17, v0
	v_add_f16_e32 v17, v32, v17
	v_fmac_f16_e32 v32, -0.5, v25
	v_sub_f16_e32 v25, v30, v31
	v_lshrrev_b32_e32 v45, 16, v9
	v_add_f16_e32 v19, v19, v50
	v_fmamk_f16 v30, v14, 0xbaee, v16
	v_fmac_f16_e32 v16, 0x3aee, v14
	v_add_f16_e32 v14, v35, v36
	v_add_f16_e32 v0, v17, v0
	v_fmamk_f16 v17, v25, 0x3aee, v32
	v_fmac_f16_e32 v32, 0xbaee, v25
	v_add_f16_e32 v25, v18, v1
	v_add_f16_e32 v28, v28, v31
	;; [unrolled: 1-line block ×3, first 2 shown]
	v_fmac_f16_e32 v9, -0.5, v14
	v_sub_f16_e32 v14, v18, v1
	v_add_f16_e32 v18, v45, v18
	v_pack_b32_f16 v10, v19, v10
	v_fmac_f16_e32 v45, -0.5, v25
	v_sub_f16_e32 v25, v35, v36
	v_pack_b32_f16 v19, v34, v24
	v_add_f16_e32 v1, v18, v1
	v_pack_b32_f16 v18, v38, v33
	v_add_nc_u32_e32 v24, 0x600, v96
	ds_store_b32 v67, v10
	v_pack_b32_f16 v7, v7, v23
	v_pack_b32_f16 v10, v39, v11
	v_pack_b32_f16 v8, v8, v26
	v_add_nc_u32_e32 v11, 0xc00, v96
	v_pack_b32_f16 v12, v37, v12
	v_add_f16_e32 v31, v31, v36
	v_pack_b32_f16 v15, v27, v15
	v_fmamk_f16 v35, v14, 0xbaee, v9
	v_fmac_f16_e32 v9, 0x3aee, v14
	v_fmamk_f16 v14, v25, 0x3aee, v45
	v_pack_b32_f16 v13, v13, v29
	v_fmac_f16_e32 v45, 0xbaee, v25
	v_pack_b32_f16 v0, v28, v0
	ds_store_2addr_b32 v24, v18, v19 offset0:71 offset1:162
	ds_store_2addr_b32 v11, v7, v8 offset0:142 offset1:233
	;; [unrolled: 1-line block ×3, first 2 shown]
	ds_store_b32 v61, v15 offset:1820
	ds_store_b32 v61, v13 offset:3640
	ds_store_b32 v96, v0 offset:1092
	v_pack_b32_f16 v0, v30, v17
	v_pack_b32_f16 v7, v16, v32
	;; [unrolled: 1-line block ×5, first 2 shown]
	ds_store_b32 v60, v0 offset:1820
	ds_store_b32 v60, v7 offset:3640
	;; [unrolled: 1-line block ×5, first 2 shown]
	global_wb scope:SCOPE_SE
	s_wait_dscnt 0x0
	s_barrier_signal -1
	s_barrier_wait -1
	global_inv scope:SCOPE_SE
	ds_load_2addr_b32 v[0:1], v67 offset1:105
	v_lshrrev_b32_e32 v33, 16, v72
	s_wait_dscnt 0x0
	v_lshrrev_b32_e32 v9, 16, v0
	s_delay_alu instid0(VALU_DEP_1) | instskip(NEXT) | instid1(VALU_DEP_1)
	v_mul_f16_e32 v7, v94, v9
	v_fmac_f16_e32 v7, v92, v0
	v_mul_f16_e32 v0, v94, v0
	s_delay_alu instid0(VALU_DEP_2) | instskip(NEXT) | instid1(VALU_DEP_2)
	v_cvt_f32_f16_e32 v7, v7
	v_fma_f16 v0, v92, v9, -v0
	s_delay_alu instid0(VALU_DEP_2) | instskip(NEXT) | instid1(VALU_DEP_2)
	v_cvt_f64_f32_e32 v[7:8], v7
	v_cvt_f32_f16_e32 v0, v0
	s_delay_alu instid0(VALU_DEP_1) | instskip(SKIP_1) | instid1(VALU_DEP_1)
	v_cvt_f64_f32_e32 v[9:10], v0
	v_lshrrev_b32_e32 v0, 16, v1
	v_mul_f16_e32 v11, v93, v0
	s_delay_alu instid0(VALU_DEP_1) | instskip(SKIP_1) | instid1(VALU_DEP_2)
	v_fmac_f16_e32 v11, v90, v1
	v_mul_f16_e32 v1, v93, v1
	v_cvt_f32_f16_e32 v11, v11
	s_delay_alu instid0(VALU_DEP_2) | instskip(NEXT) | instid1(VALU_DEP_2)
	v_fma_f16 v0, v90, v0, -v1
	v_cvt_f64_f32_e32 v[11:12], v11
	s_delay_alu instid0(VALU_DEP_2) | instskip(SKIP_3) | instid1(VALU_DEP_4)
	v_cvt_f32_f16_e32 v0, v0
	s_wait_alu 0xfffe
	v_mul_f64_e32 v[7:8], s[8:9], v[7:8]
	v_mul_f64_e32 v[9:10], s[8:9], v[9:10]
	;; [unrolled: 1-line block ×3, first 2 shown]
	s_delay_alu instid0(VALU_DEP_3) | instskip(SKIP_3) | instid1(VALU_DEP_4)
	v_and_or_b32 v7, 0x1ff, v8, v7
	v_lshrrev_b32_e32 v13, 8, v8
	v_bfe_u32 v14, v8, 20, 11
	v_lshrrev_b32_e32 v27, 16, v8
	v_cmp_ne_u32_e64 s0, 0, v7
	v_and_or_b32 v1, 0x1ff, v10, v9
	s_delay_alu instid0(VALU_DEP_4)
	v_add_nc_u32_e32 v19, 0xfffffc10, v14
	v_lshrrev_b32_e32 v17, 8, v10
	v_bfe_u32 v18, v10, 20, 11
	s_wait_alu 0xf1ff
	v_cndmask_b32_e64 v7, 0, 1, s0
	v_cmp_ne_u32_e64 s0, 0, v1
	v_cvt_f64_f32_e32 v[0:1], v0
	v_lshrrev_b32_e32 v30, 16, v10
	s_delay_alu instid0(VALU_DEP_4) | instskip(SKIP_3) | instid1(VALU_DEP_3)
	v_and_or_b32 v16, 0xffe, v13, v7
	v_sub_nc_u32_e32 v7, 0x3f1, v14
	s_wait_alu 0xf1ff
	v_cndmask_b32_e64 v9, 0, 1, s0
	v_or_b32_e32 v13, 0x1000, v16
	s_delay_alu instid0(VALU_DEP_3) | instskip(NEXT) | instid1(VALU_DEP_3)
	v_med3_i32 v7, v7, 0, 13
	v_and_or_b32 v9, 0xffe, v17, v9
	v_sub_nc_u32_e32 v17, 0x3f1, v18
	s_delay_alu instid0(VALU_DEP_3) | instskip(NEXT) | instid1(VALU_DEP_3)
	v_lshrrev_b32_e32 v15, v7, v13
	v_or_b32_e32 v23, 0x1000, v9
	s_delay_alu instid0(VALU_DEP_3) | instskip(SKIP_1) | instid1(VALU_DEP_4)
	v_med3_i32 v17, v17, 0, 13
	v_and_or_b32 v11, 0x1ff, v12, v11
	v_lshlrev_b32_e32 v7, v7, v15
	s_delay_alu instid0(VALU_DEP_3) | instskip(NEXT) | instid1(VALU_DEP_2)
	v_lshrrev_b32_e32 v25, v17, v23
	v_cmp_ne_u32_e64 s0, v7, v13
	v_mad_co_u64_u32 v[13:14], null, s6, v22, 0
	s_delay_alu instid0(VALU_DEP_3) | instskip(SKIP_1) | instid1(VALU_DEP_3)
	v_lshlrev_b32_e32 v17, v17, v25
	s_wait_alu 0xf1ff
	v_cndmask_b32_e64 v7, 0, 1, s0
	v_cmp_gt_i32_e64 s0, 1, v19
	s_delay_alu instid0(VALU_DEP_3) | instskip(SKIP_1) | instid1(VALU_DEP_4)
	v_cmp_ne_u32_e64 s2, v17, v23
	v_add_nc_u32_e32 v23, 0xfffffc10, v18
	v_or_b32_e32 v7, v15, v7
	v_lshl_or_b32 v15, v19, 12, v16
	s_wait_alu 0xf1ff
	v_cndmask_b32_e64 v17, 0, 1, s2
	v_mul_f64_e32 v[0:1], s[8:9], v[0:1]
	v_cmp_ne_u32_e64 s2, 0, v11
	v_cndmask_b32_e64 v24, v15, v7, s0
	v_mov_b32_e32 v7, v14
	ds_load_2addr_b32 v[14:15], v6 offset0:82 offset1:187
	v_or_b32_e32 v17, v25, v17
	s_wait_alu 0xf1ff
	v_cndmask_b32_e64 v11, 0, 1, s2
	v_and_b32_e32 v26, 7, v24
	v_lshrrev_b32_e32 v24, 2, v24
	s_delay_alu instid0(VALU_DEP_2) | instskip(SKIP_1) | instid1(VALU_DEP_1)
	v_cmp_lt_i32_e64 s0, 5, v26
	v_cmp_eq_u32_e64 s1, 3, v26
	s_or_b32 s0, s1, s0
	s_wait_alu 0xfffe
	v_add_co_ci_u32_e64 v18, s0, 0, v24, s0
	v_cmp_ne_u32_e64 s0, 0, v16
	v_lshl_or_b32 v24, v23, 12, v9
	s_wait_dscnt 0x0
	v_lshrrev_b32_e32 v26, 16, v14
	s_wait_alu 0xf1ff
	v_cndmask_b32_e64 v16, 0, 1, s0
	v_cmp_gt_i32_e64 s0, 31, v19
	s_delay_alu instid0(VALU_DEP_2) | instskip(SKIP_1) | instid1(VALU_DEP_2)
	v_lshl_or_b32 v25, v16, 9, 0x7c00
	s_wait_alu 0xf1ff
	v_cndmask_b32_e64 v18, 0x7c00, v18, s0
	v_cmp_gt_i32_e64 s0, 1, v23
	v_and_or_b32 v0, 0x1ff, v1, v0
	s_wait_alu 0xf1ff
	s_delay_alu instid0(VALU_DEP_2) | instskip(SKIP_3) | instid1(VALU_DEP_4)
	v_cndmask_b32_e64 v24, v24, v17, s0
	v_mad_co_u64_u32 v[16:17], null, s7, v22, v[7:8]
	v_mul_f16_e32 v17, v91, v26
	v_cmp_eq_u32_e64 s0, 0x40f, v19
	v_and_b32_e32 v7, 7, v24
	v_bfe_u32 v22, v12, 20, 11
	v_lshrrev_b32_e32 v10, 8, v1
	v_fmac_f16_e32 v17, v88, v14
	s_wait_alu 0xf1ff
	v_cndmask_b32_e64 v19, v18, v25, s0
	v_cmp_lt_i32_e64 s0, 5, v7
	v_cmp_eq_u32_e64 s1, 3, v7
	v_lshrrev_b32_e32 v7, 2, v24
	v_lshrrev_b32_e32 v18, 8, v12
	v_cvt_f32_f16_e32 v17, v17
	v_sub_nc_u32_e32 v24, 0x3f1, v22
	s_or_b32 s0, s1, s0
	v_mul_f16_e32 v14, v91, v14
	s_wait_alu 0xfffe
	v_add_co_ci_u32_e64 v7, s0, 0, v7, s0
	v_and_or_b32 v11, 0xffe, v18, v11
	v_cvt_f64_f32_e32 v[17:18], v17
	v_cmp_ne_u32_e64 s0, 0, v9
	v_med3_i32 v24, v24, 0, 13
	v_lshrrev_b32_e32 v12, 16, v12
	v_or_b32_e32 v25, 0x1000, v11
	s_mul_u64 s[6:7], s[4:5], 0x69
	s_wait_alu 0xf1ff
	v_cndmask_b32_e64 v9, 0, 1, s0
	v_cmp_gt_i32_e64 s0, 31, v23
	s_wait_alu 0xfffe
	s_lshl_b64 s[6:7], s[6:7], 2
	v_lshrrev_b32_e32 v28, v24, v25
	v_lshl_or_b32 v9, v9, 9, 0x7c00
	v_cndmask_b32_e64 v7, 0x7c00, v7, s0
	v_cmp_eq_u32_e64 s0, 0x40f, v23
	s_wait_alu 0xf1ff
	s_delay_alu instid0(VALU_DEP_1)
	v_cndmask_b32_e64 v29, v7, v9, s0
	v_cmp_ne_u32_e64 s0, 0, v0
	v_lshlrev_b32_e32 v9, v24, v28
	v_bfe_u32 v24, v1, 20, 11
	v_mad_co_u64_u32 v[7:8], null, s4, v87, 0
	s_wait_alu 0xf1ff
	v_cndmask_b32_e64 v0, 0, 1, s0
	v_cmp_ne_u32_e64 s0, v9, v25
	v_add_nc_u32_e32 v25, 0xfffffc10, v22
	s_delay_alu instid0(VALU_DEP_3)
	v_and_or_b32 v31, 0xffe, v10, v0
	v_fma_f16 v0, v88, v26, -v14
	v_sub_nc_u32_e32 v10, 0x3f1, v24
	s_wait_alu 0xf1ff
	v_cndmask_b32_e64 v9, 0, 1, s0
	v_cmp_gt_i32_e64 s0, 1, v25
	v_or_b32_e32 v26, 0x1000, v31
	v_cvt_f32_f16_e32 v14, v0
	v_med3_i32 v32, v10, 0, 13
	v_mov_b32_e32 v0, v8
	v_or_b32_e32 v8, v28, v9
	v_mul_f64_e32 v[17:18], s[8:9], v[17:18]
	v_cvt_f64_f32_e32 v[9:10], v14
	v_lshl_or_b32 v14, v25, 12, v11
	v_lshrrev_b32_e32 v28, v32, v26
	v_mad_co_u64_u32 v[22:23], null, s5, v87, v[0:1]
	v_add_nc_u32_e32 v24, 0xfffffc10, v24
	s_wait_alu 0xf1ff
	v_cndmask_b32_e64 v0, v14, v8, s0
	v_lshlrev_b32_e32 v8, v32, v28
	v_mov_b32_e32 v14, v16
	v_and_or_b32 v16, 0x8000, v27, v19
	v_and_or_b32 v19, 0x8000, v30, v29
	v_and_b32_e32 v23, 7, v0
	v_cmp_ne_u32_e64 s0, v8, v26
	v_mov_b32_e32 v8, v22
	v_lshrrev_b32_e32 v0, 2, v0
	v_and_b32_e32 v16, 0xffff, v16
	v_cmp_eq_u32_e64 s1, 3, v23
	s_wait_alu 0xf1ff
	v_cndmask_b32_e64 v26, 0, 1, s0
	v_cmp_lt_i32_e64 s0, 5, v23
	v_cmp_gt_i32_e64 s2, 1, v24
	v_lshl_or_b32 v19, v19, 16, v16
	v_lshlrev_b64_e32 v[13:14], 2, v[13:14]
	v_or_b32_e32 v22, v28, v26
	s_or_b32 s0, s1, s0
	v_lshl_or_b32 v26, v24, 12, v31
	s_wait_alu 0xfffe
	v_add_co_ci_u32_e64 v0, s0, 0, v0, s0
	v_cmp_ne_u32_e64 s0, 0, v11
	v_lshrrev_b32_e32 v32, 16, v78
	v_cndmask_b32_e64 v16, v26, v22, s2
	v_cmp_eq_u32_e64 s2, 0x40f, v25
	s_wait_alu 0xf1ff
	v_cndmask_b32_e64 v11, 0, 1, s0
	v_cmp_gt_i32_e64 s0, 31, v25
	v_and_b32_e32 v22, 7, v16
	s_delay_alu instid0(VALU_DEP_3) | instskip(SKIP_1) | instid1(VALU_DEP_3)
	v_lshl_or_b32 v11, v11, 9, 0x7c00
	s_wait_alu 0xf1ff
	v_cndmask_b32_e64 v0, 0x7c00, v0, s0
	s_delay_alu instid0(VALU_DEP_3)
	v_cmp_lt_i32_e64 s0, 5, v22
	v_cmp_eq_u32_e64 s1, 3, v22
	v_mul_f64_e32 v[9:10], s[8:9], v[9:10]
	v_lshrrev_b32_e32 v22, 16, v15
	v_cndmask_b32_e64 v11, v0, v11, s2
	v_lshrrev_b32_e32 v0, 2, v16
	v_and_or_b32 v16, 0x1ff, v18, v17
	s_or_b32 s0, s1, s0
	v_mul_f16_e32 v17, v89, v22
	v_lshrrev_b32_e32 v23, 8, v18
	s_wait_alu 0xfffe
	v_add_co_ci_u32_e64 v0, s0, 0, v0, s0
	v_cmp_ne_u32_e64 s0, 0, v16
	v_fmac_f16_e32 v17, v85, v15
	v_bfe_u32 v25, v18, 20, 11
	v_and_or_b32 v11, 0x8000, v12, v11
	v_mul_f16_e32 v12, v89, v15
	s_wait_alu 0xf1ff
	v_cndmask_b32_e64 v16, 0, 1, s0
	v_cmp_ne_u32_e64 s0, 0, v31
	v_sub_nc_u32_e32 v27, 0x3f1, v25
	v_lshrrev_b32_e32 v18, 16, v18
	v_fma_f16 v12, v85, v22, -v12
	v_and_or_b32 v23, 0xffe, v23, v16
	v_cvt_f32_f16_e32 v16, v17
	s_wait_alu 0xf1ff
	v_cndmask_b32_e64 v26, 0, 1, s0
	v_cmp_gt_i32_e64 s0, 31, v24
	v_med3_i32 v27, v27, 0, 13
	v_or_b32_e32 v28, 0x1000, v23
	v_cvt_f64_f32_e32 v[16:17], v16
	v_lshl_or_b32 v26, v26, 9, 0x7c00
	s_wait_alu 0xf1ff
	v_cndmask_b32_e64 v0, 0x7c00, v0, s0
	v_cmp_eq_u32_e64 s0, 0x40f, v24
	v_lshrrev_b32_e32 v29, v27, v28
	v_cvt_f32_f16_e32 v12, v12
	s_wait_alu 0xf1ff
	s_delay_alu instid0(VALU_DEP_3)
	v_cndmask_b32_e64 v24, v0, v26, s0
	v_add_co_u32 v30, s0, s10, v13
	v_lshlrev_b32_e32 v13, v27, v29
	s_wait_alu 0xf1ff
	v_add_co_ci_u32_e64 v31, s0, s11, v14, s0
	v_lshrrev_b32_e32 v26, 16, v1
	v_lshlrev_b64_e32 v[0:1], 2, v[7:8]
	v_and_or_b32 v7, 0x1ff, v10, v9
	v_cmp_ne_u32_e64 s0, v13, v28
	v_add_nc_u32_e32 v9, 0xfffffc10, v25
	v_lshrrev_b32_e32 v13, 8, v10
	v_bfe_u32 v15, v10, 20, 11
	v_and_b32_e32 v28, 0xffff, v11
	s_wait_alu 0xf1ff
	v_cndmask_b32_e64 v8, 0, 1, s0
	v_cmp_ne_u32_e64 s0, 0, v7
	v_lshl_or_b32 v14, v9, 12, v23
	v_and_or_b32 v24, 0x8000, v26, v24
	s_delay_alu instid0(VALU_DEP_4) | instskip(SKIP_4) | instid1(VALU_DEP_3)
	v_or_b32_e32 v8, v29, v8
	s_wait_alu 0xf1ff
	v_cndmask_b32_e64 v7, 0, 1, s0
	v_cmp_gt_i32_e64 s0, 1, v9
	v_lshl_or_b32 v24, v24, 16, v28
	v_and_or_b32 v22, 0xffe, v13, v7
	v_sub_nc_u32_e32 v7, 0x3f1, v15
	s_wait_alu 0xf1ff
	v_cndmask_b32_e64 v25, v14, v8, s0
	v_add_nc_u32_e32 v13, 0x600, v67
	v_add_co_u32 v0, s0, v30, v0
	v_med3_i32 v27, v7, 0, 13
	v_cvt_f64_f32_e32 v[7:8], v12
	v_mul_f64_e32 v[11:12], s[8:9], v[16:17]
	v_or_b32_e32 v26, 0x1000, v22
	v_and_b32_e32 v16, 7, v25
	ds_load_2addr_b32 v[13:14], v13 offset0:36 offset1:141
	s_wait_alu 0xf1ff
	v_add_co_ci_u32_e64 v1, s0, v31, v1, s0
	v_lshrrev_b32_e32 v17, v27, v26
	v_cmp_lt_i32_e64 s0, 5, v16
	v_cmp_eq_u32_e64 s1, 3, v16
	v_lshrrev_b32_e32 v16, 2, v25
	v_lshrrev_b32_e32 v31, 16, v79
	v_lshlrev_b32_e32 v27, v27, v17
	s_delay_alu instid0(VALU_DEP_4) | instskip(NEXT) | instid1(VALU_DEP_1)
	s_or_b32 s0, s1, s0
	v_cmp_ne_u32_e64 s2, v27, v26
	v_add_nc_u32_e32 v26, 0xfffffc10, v15
	s_wait_alu 0xfffe
	v_add_co_ci_u32_e64 v15, s0, 0, v16, s0
	v_cmp_ne_u32_e64 s0, 0, v23
	s_wait_alu 0xf1ff
	v_cndmask_b32_e64 v25, 0, 1, s2
	v_lshl_or_b32 v23, v26, 12, v22
	s_delay_alu instid0(VALU_DEP_3) | instskip(SKIP_1) | instid1(VALU_DEP_4)
	v_cndmask_b32_e64 v16, 0, 1, s0
	v_cmp_gt_i32_e64 s0, 31, v9
	v_or_b32_e32 v17, v17, v25
	s_wait_dscnt 0x0
	v_lshrrev_b32_e32 v25, 16, v13
	v_lshl_or_b32 v16, v16, 9, 0x7c00
	s_wait_alu 0xf1ff
	v_cndmask_b32_e64 v15, 0x7c00, v15, s0
	v_cmp_gt_i32_e64 s0, 1, v26
	s_wait_alu 0xf1ff
	s_delay_alu instid0(VALU_DEP_1)
	v_cndmask_b32_e64 v17, v23, v17, s0
	v_mul_f16_e32 v23, v86, v25
	v_mul_f64_e32 v[7:8], s[8:9], v[7:8]
	v_cmp_eq_u32_e64 s0, 0x40f, v9
	v_and_or_b32 v11, 0x1ff, v12, v11
	v_and_b32_e32 v9, 7, v17
	v_fmac_f16_e32 v23, v83, v13
	v_mul_f16_e32 v13, v86, v13
	s_wait_alu 0xf1ff
	v_cndmask_b32_e64 v27, v15, v16, s0
	v_cmp_ne_u32_e64 s2, 0, v11
	v_cmp_lt_i32_e64 s0, 5, v9
	v_cvt_f32_f16_e32 v15, v23
	v_cmp_eq_u32_e64 s1, 3, v9
	v_lshrrev_b32_e32 v9, 2, v17
	s_wait_alu 0xf1ff
	v_cndmask_b32_e64 v11, 0, 1, s2
	v_lshrrev_b32_e32 v17, 8, v12
	v_cvt_f64_f32_e32 v[15:16], v15
	v_bfe_u32 v23, v12, 20, 11
	s_or_b32 s0, s1, s0
	v_fma_f16 v13, v83, v25, -v13
	v_and_or_b32 v11, 0xffe, v17, v11
	s_wait_alu 0xfffe
	v_add_co_ci_u32_e64 v9, s0, 0, v9, s0
	v_sub_nc_u32_e32 v17, 0x3f1, v23
	v_cmp_ne_u32_e64 s0, 0, v22
	v_or_b32_e32 v28, 0x1000, v11
	v_cvt_f32_f16_e32 v13, v13
	v_and_or_b32 v25, 0x8000, v18, v27
	v_med3_i32 v17, v17, 0, 13
	s_wait_alu 0xf1ff
	v_cndmask_b32_e64 v22, 0, 1, s0
	v_cmp_gt_i32_e64 s0, 31, v26
	v_add_nc_u32_e32 v23, 0xfffffc10, v23
	v_and_b32_e32 v25, 0xffff, v25
	v_lshrrev_b32_e32 v29, v17, v28
	v_lshl_or_b32 v22, v22, 9, 0x7c00
	s_wait_alu 0xf1ff
	v_cndmask_b32_e64 v9, 0x7c00, v9, s0
	v_cmp_eq_u32_e64 s0, 0x40f, v26
	v_lshrrev_b32_e32 v26, 16, v10
	v_lshlrev_b32_e32 v17, v17, v29
	v_and_or_b32 v7, 0x1ff, v8, v7
	s_wait_alu 0xf1ff
	v_cndmask_b32_e64 v22, v9, v22, s0
	v_add_co_u32 v9, s0, v0, s6
	s_wait_alu 0xf1ff
	v_add_co_ci_u32_e64 v10, s0, s7, v1, s0
	v_cmp_ne_u32_e64 s0, v17, v28
	v_and_or_b32 v22, 0x8000, v26, v22
	v_cvt_f64_f32_e32 v[17:18], v13
	v_lshrrev_b32_e32 v13, 8, v8
	v_bfe_u32 v27, v8, 20, 11
	s_wait_alu 0xf1ff
	v_cndmask_b32_e64 v26, 0, 1, s0
	v_cmp_ne_u32_e64 s0, 0, v7
	v_lshl_or_b32 v28, v23, 12, v11
	v_mul_f64_e32 v[15:16], s[8:9], v[15:16]
	s_clause 0x1
	global_store_b32 v[0:1], v19, off
	global_store_b32 v[9:10], v24, off
	v_or_b32_e32 v26, v29, v26
	s_wait_alu 0xf1ff
	v_cndmask_b32_e64 v7, 0, 1, s0
	v_cmp_gt_i32_e64 s0, 1, v23
	v_lshl_or_b32 v19, v22, 16, v25
	v_lshrrev_b32_e32 v29, 16, v81
	v_lshrrev_b32_e32 v8, 16, v8
	v_and_or_b32 v7, 0xffe, v13, v7
	v_sub_nc_u32_e32 v13, 0x3f1, v27
	s_wait_alu 0xf1ff
	v_cndmask_b32_e64 v26, v28, v26, s0
	v_add_co_u32 v0, s0, v9, s6
	v_or_b32_e32 v28, 0x1000, v7
	v_med3_i32 v13, v13, 0, 13
	s_delay_alu instid0(VALU_DEP_4)
	v_and_b32_e32 v22, 7, v26
	s_wait_alu 0xf1ff
	v_add_co_ci_u32_e64 v1, s0, s7, v10, s0
	v_lshrrev_b32_e32 v10, 2, v26
	v_lshrrev_b32_e32 v24, v13, v28
	v_cmp_lt_i32_e64 s0, 5, v22
	v_cmp_eq_u32_e64 s1, 3, v22
	v_add_nc_u32_e32 v22, 0xfffffc10, v27
	global_store_b32 v[0:1], v19, off
	v_lshlrev_b32_e32 v9, v13, v24
	v_lshrrev_b32_e32 v13, 16, v14
	s_or_b32 s0, s1, s0
	v_lshl_or_b32 v27, v22, 12, v7
	s_wait_alu 0xfffe
	v_add_co_ci_u32_e64 v26, s0, 0, v10, s0
	v_cmp_ne_u32_e64 s2, v9, v28
	v_cmp_gt_i32_e64 s0, 31, v23
	v_mul_f16_e32 v25, v29, v13
	s_wait_alu 0xf1ff
	s_delay_alu instid0(VALU_DEP_3) | instskip(NEXT) | instid1(VALU_DEP_3)
	v_cndmask_b32_e64 v9, 0, 1, s2
	v_cndmask_b32_e64 v26, 0x7c00, v26, s0
	v_cmp_gt_i32_e64 s0, 1, v22
	v_fmac_f16_e32 v25, v81, v14
	v_and_or_b32 v15, 0x1ff, v16, v15
	v_or_b32_e32 v24, v24, v9
	v_mul_f64_e32 v[9:10], s[8:9], v[17:18]
	v_bfe_u32 v28, v16, 20, 11
	v_cvt_f32_f16_e32 v17, v25
	v_cmp_eq_u32_e64 s2, 0x40f, v23
	s_wait_alu 0xf1ff
	v_cndmask_b32_e64 v24, v27, v24, s0
	v_cmp_ne_u32_e64 s0, 0, v11
	v_lshrrev_b32_e32 v27, 8, v16
	v_cvt_f64_f32_e32 v[17:18], v17
	v_mul_f16_e32 v14, v29, v14
	v_and_b32_e32 v25, 7, v24
	s_wait_alu 0xf1ff
	v_cndmask_b32_e64 v11, 0, 1, s0
	v_cmp_ne_u32_e64 s0, 0, v15
	v_lshrrev_b32_e32 v16, 16, v16
	v_cmp_eq_u32_e64 s1, 3, v25
	s_delay_alu instid0(VALU_DEP_4)
	v_lshl_or_b32 v11, v11, 9, 0x7c00
	s_wait_alu 0xf1ff
	v_cndmask_b32_e64 v15, 0, 1, s0
	v_cmp_lt_i32_e64 s0, 5, v25
	v_sub_nc_u32_e32 v25, 0x3f1, v28
	v_cndmask_b32_e64 v23, v26, v11, s2
	s_delay_alu instid0(VALU_DEP_4) | instskip(SKIP_1) | instid1(VALU_DEP_4)
	v_and_or_b32 v15, 0xffe, v27, v15
	v_lshrrev_b32_e32 v11, 2, v24
	v_med3_i32 v25, v25, 0, 13
	s_or_b32 s0, s1, s0
	v_lshrrev_b32_e32 v27, 16, v12
	v_or_b32_e32 v24, 0x1000, v15
	s_wait_alu 0xfffe
	v_add_co_ci_u32_e64 v11, s0, 0, v11, s0
	v_cmp_gt_i32_e64 s0, 31, v22
	v_and_or_b32 v23, 0x8000, v27, v23
	v_lshrrev_b32_e32 v26, v25, v24
	s_wait_alu 0xf1ff
	s_delay_alu instid0(VALU_DEP_3) | instskip(SKIP_1) | instid1(VALU_DEP_3)
	v_cndmask_b32_e64 v29, 0x7c00, v11, s0
	v_cmp_ne_u32_e64 s0, 0, v7
	v_lshlrev_b32_e32 v12, v25, v26
	v_fma_f16 v11, v81, v13, -v14
	v_and_or_b32 v9, 0x1ff, v10, v9
	v_lshrrev_b32_e32 v25, 8, v10
	s_wait_alu 0xf1ff
	v_cndmask_b32_e64 v7, 0, 1, s0
	v_cmp_ne_u32_e64 s0, v12, v24
	v_cvt_f32_f16_e32 v11, v11
	v_add_nc_u32_e32 v24, 0xfffffc10, v28
	v_bfe_u32 v28, v10, 20, 11
	v_lshl_or_b32 v7, v7, 9, 0x7c00
	s_wait_alu 0xf1ff
	v_cndmask_b32_e64 v13, 0, 1, s0
	v_cmp_ne_u32_e64 s0, 0, v9
	v_cvt_f64_f32_e32 v[11:12], v11
	v_and_b32_e32 v23, 0xffff, v23
	s_delay_alu instid0(VALU_DEP_4)
	v_or_b32_e32 v26, v26, v13
	s_wait_alu 0xf1ff
	v_cndmask_b32_e64 v9, 0, 1, s0
	v_mul_f64_e32 v[13:14], s[8:9], v[17:18]
	v_lshl_or_b32 v17, v24, 12, v15
	v_sub_nc_u32_e32 v18, 0x3f1, v28
	v_cmp_gt_i32_e64 s0, 1, v24
	v_and_or_b32 v9, 0xffe, v25, v9
	s_delay_alu instid0(VALU_DEP_3) | instskip(SKIP_1) | instid1(VALU_DEP_3)
	v_med3_i32 v30, v18, 0, 13
	s_wait_alu 0xf1ff
	v_cndmask_b32_e64 v25, v17, v26, s0
	s_delay_alu instid0(VALU_DEP_3)
	v_or_b32_e32 v26, 0x1000, v9
	ds_load_2addr_b32 v[17:18], v4 offset0:118 offset1:223
	v_cmp_eq_u32_e64 s0, 0x40f, v22
	v_and_b32_e32 v27, 7, v25
	v_lshrrev_b32_e32 v22, v30, v26
	s_wait_alu 0xf1ff
	s_delay_alu instid0(VALU_DEP_3) | instskip(NEXT) | instid1(VALU_DEP_3)
	v_cndmask_b32_e64 v7, v29, v7, s0
	v_cmp_lt_i32_e64 s0, 5, v27
	v_cmp_eq_u32_e64 s1, 3, v27
	s_delay_alu instid0(VALU_DEP_3) | instskip(SKIP_2) | instid1(VALU_DEP_4)
	v_and_or_b32 v19, 0x8000, v8, v7
	v_lshlrev_b32_e32 v7, v30, v22
	v_lshrrev_b32_e32 v8, 2, v25
	s_or_b32 s0, s1, s0
	v_add_nc_u32_e32 v25, 0xfffffc10, v28
	v_lshl_or_b32 v19, v19, 16, v23
	v_cmp_ne_u32_e64 s2, v7, v26
	s_wait_alu 0xfffe
	v_add_co_ci_u32_e64 v26, s0, 0, v8, s0
	s_wait_dscnt 0x0
	v_lshrrev_b32_e32 v27, 16, v17
	v_cmp_ne_u32_e64 s0, 0, v15
	s_wait_alu 0xf1ff
	v_cndmask_b32_e64 v7, 0, 1, s2
	v_lshl_or_b32 v28, v25, 12, v9
	v_cmp_eq_u32_e64 s2, 0x40f, v24
	v_lshrrev_b32_e32 v23, 16, v10
	v_cndmask_b32_e64 v15, 0, 1, s0
	v_or_b32_e32 v22, v22, v7
	v_mul_f64_e32 v[7:8], s[8:9], v[11:12]
	v_mul_f16_e32 v11, v31, v27
	v_cmp_gt_i32_e64 s0, 1, v25
	v_and_or_b32 v12, 0x1ff, v14, v13
	v_lshl_or_b32 v15, v15, 9, 0x7c00
	v_lshrrev_b32_e32 v29, 8, v14
	v_fmac_f16_e32 v11, v79, v17
	s_wait_alu 0xf1ff
	v_cndmask_b32_e64 v22, v28, v22, s0
	v_cmp_gt_i32_e64 s0, 31, v24
	v_bfe_u32 v30, v14, 20, 11
	v_lshrrev_b32_e32 v14, 16, v14
	v_cvt_f32_f16_e32 v11, v11
	s_wait_alu 0xf1ff
	v_cndmask_b32_e64 v13, 0x7c00, v26, s0
	v_and_b32_e32 v26, 7, v22
	v_cmp_ne_u32_e64 s0, 0, v12
	v_cvt_f64_f32_e32 v[11:12], v11
	s_delay_alu instid0(VALU_DEP_4) | instskip(NEXT) | instid1(VALU_DEP_4)
	v_cndmask_b32_e64 v13, v13, v15, s2
	v_cmp_eq_u32_e64 s1, 3, v26
	s_wait_alu 0xf1ff
	v_cndmask_b32_e64 v28, 0, 1, s0
	v_cmp_lt_i32_e64 s0, 5, v26
	v_lshrrev_b32_e32 v15, 2, v22
	v_and_or_b32 v13, 0x8000, v16, v13
	s_delay_alu instid0(VALU_DEP_4) | instskip(NEXT) | instid1(VALU_DEP_4)
	v_and_or_b32 v26, 0xffe, v29, v28
	s_or_b32 s0, s1, s0
	v_sub_nc_u32_e32 v28, 0x3f1, v30
	s_wait_alu 0xfffe
	v_add_co_ci_u32_e64 v15, s0, 0, v15, s0
	v_cmp_ne_u32_e64 s0, 0, v9
	v_or_b32_e32 v22, 0x1000, v26
	v_med3_i32 v24, v28, 0, 13
	v_and_b32_e32 v13, 0xffff, v13
	s_wait_alu 0xf1ff
	v_cndmask_b32_e64 v9, 0, 1, s0
	v_cmp_gt_i32_e64 s0, 31, v25
	v_lshrrev_b32_e32 v28, v24, v22
	v_and_or_b32 v7, 0x1ff, v8, v7
	s_delay_alu instid0(VALU_DEP_4)
	v_lshl_or_b32 v9, v9, 9, 0x7c00
	s_wait_alu 0xf1ff
	v_cndmask_b32_e64 v15, 0x7c00, v15, s0
	v_cmp_eq_u32_e64 s0, 0x40f, v25
	v_lshlrev_b32_e32 v16, v24, v28
	v_add_nc_u32_e32 v24, 0xfffffc10, v30
	s_wait_alu 0xf1ff
	s_delay_alu instid0(VALU_DEP_3)
	v_cndmask_b32_e64 v15, v15, v9, s0
	v_mul_f16_e32 v9, v31, v17
	v_cmp_ne_u32_e64 s0, v16, v22
	v_lshrrev_b32_e32 v16, 8, v8
	v_bfe_u32 v17, v8, 20, 11
	v_and_or_b32 v15, 0x8000, v23, v15
	v_fma_f16 v9, v79, v27, -v9
	s_wait_alu 0xf1ff
	v_cndmask_b32_e64 v10, 0, 1, s0
	v_cmp_ne_u32_e64 s0, 0, v7
	v_lshl_or_b32 v27, v24, 12, v26
	v_cvt_f32_f16_e32 v25, v9
	s_delay_alu instid0(VALU_DEP_4)
	v_or_b32_e32 v22, v28, v10
	s_wait_alu 0xf1ff
	v_cndmask_b32_e64 v7, 0, 1, s0
	v_mul_f64_e32 v[9:10], s[8:9], v[11:12]
	v_cmp_gt_i32_e64 s0, 1, v24
	v_cvt_f64_f32_e32 v[11:12], v25
	s_delay_alu instid0(VALU_DEP_4)
	v_and_or_b32 v7, 0xffe, v16, v7
	v_sub_nc_u32_e32 v16, 0x3f1, v17
	s_wait_alu 0xf1ff
	v_cndmask_b32_e64 v22, v27, v22, s0
	v_add_co_u32 v0, s0, v0, s6
	v_or_b32_e32 v25, 0x1000, v7
	v_med3_i32 v16, v16, 0, 13
	s_wait_alu 0xf1ff
	v_add_co_ci_u32_e64 v1, s0, s7, v1, s0
	v_lshl_or_b32 v27, v15, 16, v13
	v_and_b32_e32 v13, 7, v22
	v_lshrrev_b32_e32 v23, v16, v25
	v_add_co_u32 v15, s0, v0, s6
	v_add_nc_u32_e32 v17, 0xfffffc10, v17
	s_delay_alu instid0(VALU_DEP_4) | instskip(NEXT) | instid1(VALU_DEP_4)
	v_cmp_eq_u32_e64 s1, 3, v13
	v_lshlrev_b32_e32 v28, v16, v23
	s_wait_alu 0xf1ff
	v_add_co_ci_u32_e64 v16, s0, s7, v1, s0
	v_cmp_lt_i32_e64 s0, 5, v13
	v_lshrrev_b32_e32 v13, 2, v22
	v_cmp_ne_u32_e64 s2, v28, v25
	v_lshrrev_b32_e32 v25, 16, v18
	s_delay_alu instid0(VALU_DEP_4)
	s_or_b32 s0, s1, s0
	s_wait_alu 0xfffe
	v_add_co_ci_u32_e64 v13, s0, 0, v13, s0
	v_cndmask_b32_e64 v22, 0, 1, s2
	v_cmp_ne_u32_e64 s0, 0, v26
	v_mul_f16_e32 v28, v32, v25
	s_delay_alu instid0(VALU_DEP_3)
	v_or_b32_e32 v22, v23, v22
	v_lshl_or_b32 v23, v17, 12, v7
	s_wait_alu 0xf1ff
	v_cndmask_b32_e64 v26, 0, 1, s0
	v_cmp_gt_i32_e64 s0, 1, v17
	v_fmac_f16_e32 v28, v78, v18
	v_and_or_b32 v9, 0x1ff, v10, v9
	v_mul_f64_e32 v[11:12], s[8:9], v[11:12]
	v_lshl_or_b32 v26, v26, 9, 0x7c00
	s_wait_alu 0xf1ff
	v_cndmask_b32_e64 v29, v23, v22, s0
	v_cmp_gt_i32_e64 s0, 31, v24
	v_cvt_f32_f16_e32 v22, v28
	v_lshrrev_b32_e32 v30, 8, v10
	v_bfe_u32 v31, v10, 20, 11
	v_and_b32_e32 v28, 7, v29
	s_wait_alu 0xf1ff
	v_cndmask_b32_e64 v13, 0x7c00, v13, s0
	v_cmp_ne_u32_e64 s0, 0, v9
	v_cvt_f64_f32_e32 v[22:23], v22
	v_mul_f16_e32 v18, v32, v18
	v_cmp_eq_u32_e64 s1, 3, v28
	s_wait_alu 0xf1ff
	v_cndmask_b32_e64 v9, 0, 1, s0
	v_cmp_eq_u32_e64 s0, 0x40f, v24
	v_sub_nc_u32_e32 v24, 0x3f1, v31
	v_fma_f16 v18, v78, v25, -v18
	s_delay_alu instid0(VALU_DEP_4)
	v_and_or_b32 v9, 0xffe, v30, v9
	s_wait_alu 0xf1ff
	v_cndmask_b32_e64 v13, v13, v26, s0
	v_cmp_lt_i32_e64 s0, 5, v28
	v_lshrrev_b32_e32 v26, 2, v29
	v_med3_i32 v24, v24, 0, 13
	v_or_b32_e32 v28, 0x1000, v9
	v_cvt_f32_f16_e32 v18, v18
	s_or_b32 s0, s1, s0
	v_and_or_b32 v29, 0x8000, v14, v13
	s_wait_alu 0xfffe
	v_add_co_ci_u32_e64 v25, s0, 0, v26, s0
	v_cmp_ne_u32_e64 s0, 0, v7
	v_lshrrev_b32_e32 v26, v24, v28
	v_cvt_f64_f32_e32 v[13:14], v18
	s_wait_alu 0xf1ff
	s_delay_alu instid0(VALU_DEP_3) | instskip(SKIP_3) | instid1(VALU_DEP_4)
	v_cndmask_b32_e64 v7, 0, 1, s0
	v_cmp_gt_i32_e64 s0, 31, v17
	v_lshlrev_b32_e32 v18, v24, v26
	v_bfe_u32 v32, v12, 20, 11
	v_lshl_or_b32 v7, v7, 9, 0x7c00
	s_wait_alu 0xf1ff
	v_cndmask_b32_e64 v25, 0x7c00, v25, s0
	v_cmp_eq_u32_e64 s0, 0x40f, v17
	s_wait_alu 0xf1ff
	s_delay_alu instid0(VALU_DEP_1)
	v_cndmask_b32_e64 v24, v25, v7, s0
	v_and_or_b32 v7, 0x1ff, v12, v11
	v_cmp_ne_u32_e64 s0, v18, v28
	v_lshrrev_b32_e32 v11, 16, v8
	v_add_nc_u32_e32 v28, 0xfffffc10, v31
	v_lshrrev_b32_e32 v31, 8, v12
	ds_load_2addr_b32 v[17:18], v3 offset0:72 offset1:177
	s_wait_alu 0xf1ff
	v_cndmask_b32_e64 v25, 0, 1, s0
	v_cmp_ne_u32_e64 s0, 0, v7
	v_mul_f64_e32 v[7:8], s[8:9], v[22:23]
	v_and_or_b32 v11, 0x8000, v11, v24
	v_lshl_or_b32 v23, v28, 12, v9
	v_or_b32_e32 v22, v26, v25
	s_wait_alu 0xf1ff
	v_cndmask_b32_e64 v30, 0, 1, s0
	v_sub_nc_u32_e32 v25, 0x3f1, v32
	v_cmp_gt_i32_e64 s0, 1, v28
	v_and_b32_e32 v26, 0xffff, v29
	s_clause 0x1
	global_store_b32 v[0:1], v19, off
	global_store_b32 v[15:16], v27, off
	v_and_or_b32 v24, 0xffe, v31, v30
	v_med3_i32 v25, v25, 0, 13
	s_wait_alu 0xf1ff
	v_cndmask_b32_e64 v22, v23, v22, s0
	v_lshl_or_b32 v11, v11, 16, v26
	v_add_co_u32 v0, s0, v15, s6
	v_or_b32_e32 v23, 0x1000, v24
	s_delay_alu instid0(VALU_DEP_4)
	v_and_b32_e32 v19, 7, v22
	s_wait_alu 0xf1ff
	v_add_co_ci_u32_e64 v1, s0, s7, v16, s0
	s_wait_dscnt 0x0
	v_lshrrev_b32_e32 v27, 16, v17
	v_lshrrev_b32_e32 v26, v25, v23
	v_cmp_lt_i32_e64 s0, 5, v19
	v_cmp_eq_u32_e64 s1, 3, v19
	v_mul_f64_e32 v[13:14], s[8:9], v[13:14]
	v_lshrrev_b32_e32 v30, 16, v76
	v_lshlrev_b32_e32 v15, v25, v26
	v_lshrrev_b32_e32 v19, 2, v22
	s_or_b32 s0, s1, s0
	v_add_nc_u32_e32 v22, 0xfffffc10, v32
	v_mul_f16_e32 v16, v30, v27
	v_cmp_ne_u32_e64 s2, v15, v23
	s_wait_alu 0xfffe
	v_add_co_ci_u32_e64 v19, s0, 0, v19, s0
	v_cmp_ne_u32_e64 s0, 0, v9
	v_fmac_f16_e32 v16, v76, v17
	s_wait_alu 0xf1ff
	v_cndmask_b32_e64 v15, 0, 1, s2
	v_lshl_or_b32 v25, v22, 12, v24
	v_mul_f16_e32 v17, v30, v17
	v_and_or_b32 v7, 0x1ff, v8, v7
	v_cndmask_b32_e64 v9, 0, 1, s0
	v_or_b32_e32 v23, v26, v15
	v_cmp_gt_i32_e64 s0, 1, v22
	v_cvt_f32_f16_e32 v15, v16
	v_bfe_u32 v26, v8, 20, 11
	v_lshl_or_b32 v9, v9, 9, 0x7c00
	v_fma_f16 v17, v76, v27, -v17
	s_wait_alu 0xf1ff
	v_cndmask_b32_e64 v23, v25, v23, s0
	v_cmp_ne_u32_e64 s0, 0, v7
	v_cvt_f64_f32_e32 v[15:16], v15
	v_lshrrev_b32_e32 v25, 8, v8
	v_cvt_f32_f16_e32 v17, v17
	v_and_b32_e32 v29, 7, v23
	s_wait_alu 0xf1ff
	v_cndmask_b32_e64 v7, 0, 1, s0
	v_cmp_gt_i32_e64 s0, 31, v28
	v_lshrrev_b32_e32 v12, 16, v12
	global_store_b32 v[0:1], v11, off
	v_cmp_eq_u32_e64 s1, 3, v29
	v_and_or_b32 v7, 0xffe, v25, v7
	s_wait_alu 0xf1ff
	v_cndmask_b32_e64 v19, 0x7c00, v19, s0
	v_sub_nc_u32_e32 v25, 0x3f1, v26
	v_cmp_eq_u32_e64 s0, 0x40f, v28
	v_lshrrev_b32_e32 v28, 16, v10
	v_lshrrev_b32_e32 v10, 2, v23
	v_and_or_b32 v13, 0x1ff, v14, v13
	v_med3_i32 v25, v25, 0, 13
	s_wait_alu 0xf1ff
	v_cndmask_b32_e64 v19, v19, v9, s0
	v_or_b32_e32 v9, 0x1000, v7
	v_cmp_lt_i32_e64 s0, 5, v29
	v_bfe_u32 v27, v14, 20, 11
	v_add_nc_u32_e32 v26, 0xfffffc10, v26
	v_and_or_b32 v11, 0x8000, v28, v19
	v_lshrrev_b32_e32 v23, v25, v9
	s_or_b32 s0, s1, s0
	v_add_nc_u32_e32 v19, 0xfffffc10, v27
	s_wait_alu 0xfffe
	v_add_co_ci_u32_e64 v29, s0, 0, v10, s0
	v_lshlrev_b32_e32 v10, v25, v23
	v_cmp_ne_u32_e64 s0, 0, v13
	v_lshrrev_b32_e32 v25, 8, v14
	v_lshrrev_b32_e32 v8, 16, v8
	s_wait_alu 0xf1ff
	s_delay_alu instid0(VALU_DEP_3) | instskip(SKIP_2) | instid1(VALU_DEP_3)
	v_cndmask_b32_e64 v13, 0, 1, s0
	v_cmp_ne_u32_e64 s0, v10, v9
	v_mul_f64_e32 v[9:10], s[8:9], v[15:16]
	v_and_or_b32 v13, 0xffe, v25, v13
	s_wait_alu 0xf1ff
	s_delay_alu instid0(VALU_DEP_3)
	v_cndmask_b32_e64 v30, 0, 1, s0
	v_cmp_ne_u32_e64 s0, 0, v24
	v_sub_nc_u32_e32 v25, 0x3f1, v27
	v_cvt_f64_f32_e32 v[15:16], v17
	v_lshl_or_b32 v24, v26, 12, v7
	v_or_b32_e32 v23, v23, v30
	s_wait_alu 0xf1ff
	v_cndmask_b32_e64 v17, 0, 1, s0
	v_cmp_gt_i32_e64 s0, 31, v22
	v_or_b32_e32 v30, 0x1000, v13
	v_med3_i32 v25, v25, 0, 13
	s_delay_alu instid0(VALU_DEP_4) | instskip(SKIP_4) | instid1(VALU_DEP_1)
	v_lshl_or_b32 v17, v17, 9, 0x7c00
	s_wait_alu 0xf1ff
	v_cndmask_b32_e64 v29, 0x7c00, v29, s0
	v_cmp_gt_i32_e64 s0, 1, v26
	s_wait_alu 0xf1ff
	v_cndmask_b32_e64 v23, v24, v23, s0
	v_lshrrev_b32_e32 v24, v25, v30
	v_cmp_eq_u32_e64 s0, 0x40f, v22
	s_delay_alu instid0(VALU_DEP_3) | instskip(NEXT) | instid1(VALU_DEP_3)
	v_and_b32_e32 v22, 7, v23
	v_lshlrev_b32_e32 v25, v25, v24
	s_wait_alu 0xf1ff
	s_delay_alu instid0(VALU_DEP_3) | instskip(NEXT) | instid1(VALU_DEP_3)
	v_cndmask_b32_e64 v17, v29, v17, s0
	v_cmp_lt_i32_e64 s0, 5, v22
	s_delay_alu instid0(VALU_DEP_3) | instskip(NEXT) | instid1(VALU_DEP_3)
	v_cmp_ne_u32_e64 s1, v25, v30
	v_and_or_b32 v17, 0x8000, v12, v17
	v_lshrrev_b32_e32 v25, 16, v18
	v_lshrrev_b32_e32 v30, 16, v74
	s_wait_alu 0xf1ff
	v_cndmask_b32_e64 v12, 0, 1, s1
	v_cmp_eq_u32_e64 s1, 3, v22
	v_and_b32_e32 v22, 0xffff, v11
	v_lshrrev_b32_e32 v11, 2, v23
	v_lshl_or_b32 v23, v19, 12, v13
	v_or_b32_e32 v12, v24, v12
	s_or_b32 s0, s1, s0
	v_and_or_b32 v9, 0x1ff, v10, v9
	s_wait_alu 0xfffe
	v_add_co_ci_u32_e64 v24, s0, 0, v11, s0
	v_cmp_ne_u32_e64 s0, 0, v7
	v_lshrrev_b32_e32 v27, 8, v10
	v_bfe_u32 v28, v10, 20, 11
	v_lshrrev_b32_e32 v10, 16, v10
	s_wait_alu 0xf1ff
	v_cndmask_b32_e64 v7, 0, 1, s0
	v_cmp_gt_i32_e64 s0, 1, v19
	s_delay_alu instid0(VALU_DEP_2) | instskip(SKIP_1) | instid1(VALU_DEP_2)
	v_lshl_or_b32 v7, v7, 9, 0x7c00
	s_wait_alu 0xf1ff
	v_cndmask_b32_e64 v23, v23, v12, s0
	v_cmp_gt_i32_e64 s0, 31, v26
	v_mul_f64_e32 v[11:12], s[8:9], v[15:16]
	v_mul_f16_e32 v16, v30, v25
	s_wait_alu 0xf1ff
	s_delay_alu instid0(VALU_DEP_3) | instskip(SKIP_1) | instid1(VALU_DEP_3)
	v_cndmask_b32_e64 v15, 0x7c00, v24, s0
	v_cmp_ne_u32_e64 s0, 0, v9
	v_fmac_f16_e32 v16, v74, v18
	v_and_b32_e32 v24, 7, v23
	v_lshrrev_b32_e32 v23, 2, v23
	s_wait_alu 0xf1ff
	v_cndmask_b32_e64 v9, 0, 1, s0
	v_cmp_eq_u32_e64 s0, 0x40f, v26
	v_cmp_eq_u32_e64 s1, 3, v24
	v_sub_nc_u32_e32 v26, 0x3f1, v28
	s_delay_alu instid0(VALU_DEP_4)
	v_and_or_b32 v9, 0xffe, v27, v9
	s_wait_alu 0xf1ff
	v_cndmask_b32_e64 v7, v15, v7, s0
	v_cvt_f32_f16_e32 v15, v16
	v_cmp_lt_i32_e64 s0, 5, v24
	v_med3_i32 v26, v26, 0, 13
	v_or_b32_e32 v24, 0x1000, v9
	v_and_or_b32 v29, 0x8000, v8, v7
	v_cvt_f64_f32_e32 v[15:16], v15
	s_or_b32 s0, s1, s0
	v_mul_f16_e32 v7, v30, v18
	s_wait_alu 0xfffe
	v_add_co_ci_u32_e64 v23, s0, 0, v23, s0
	v_cmp_ne_u32_e64 s0, 0, v13
	v_lshrrev_b32_e32 v27, v26, v24
	v_fma_f16 v7, v74, v25, -v7
	s_wait_alu 0xf1ff
	s_delay_alu instid0(VALU_DEP_3) | instskip(SKIP_3) | instid1(VALU_DEP_4)
	v_cndmask_b32_e64 v13, 0, 1, s0
	v_cmp_gt_i32_e64 s0, 31, v19
	v_lshlrev_b32_e32 v8, v26, v27
	v_cvt_f32_f16_e32 v7, v7
	v_lshl_or_b32 v13, v13, 9, 0x7c00
	s_wait_alu 0xf1ff
	v_cndmask_b32_e64 v23, 0x7c00, v23, s0
	v_cmp_eq_u32_e64 s0, 0x40f, v19
	v_and_or_b32 v11, 0x1ff, v12, v11
	v_lshrrev_b32_e32 v19, 16, v14
	v_lshrrev_b32_e32 v14, 8, v12
	s_wait_alu 0xf1ff
	v_cndmask_b32_e64 v18, v23, v13, s0
	v_cmp_ne_u32_e64 s0, v8, v24
	v_cvt_f64_f32_e32 v[7:8], v7
	v_add_nc_u32_e32 v24, 0xfffffc10, v28
	v_bfe_u32 v23, v12, 20, 11
	v_lshl_or_b32 v28, v17, 16, v22
	s_wait_alu 0xf1ff
	v_cndmask_b32_e64 v13, 0, 1, s0
	v_cmp_ne_u32_e64 s0, 0, v11
	v_lshl_or_b32 v26, v24, 12, v9
	v_and_or_b32 v17, 0x8000, v19, v18
	v_and_b32_e32 v18, 0xffff, v29
	v_or_b32_e32 v25, v27, v13
	s_wait_alu 0xf1ff
	v_cndmask_b32_e64 v11, 0, 1, s0
	v_sub_nc_u32_e32 v27, 0x3f1, v23
	v_cmp_gt_i32_e64 s0, 1, v24
	v_lshl_or_b32 v29, v17, 16, v18
	v_mul_f64_e32 v[15:16], s[8:9], v[15:16]
	v_and_or_b32 v11, 0xffe, v14, v11
	ds_load_2addr_b32 v[13:14], v2 offset0:26 offset1:131
	s_wait_alu 0xf1ff
	v_cndmask_b32_e64 v25, v26, v25, s0
	v_med3_i32 v27, v27, 0, 13
	v_add_co_u32 v0, s0, v0, s6
	v_or_b32_e32 v26, 0x1000, v11
	s_delay_alu instid0(VALU_DEP_4)
	v_and_b32_e32 v19, 7, v25
	s_wait_alu 0xf1ff
	v_add_co_ci_u32_e64 v1, s0, s7, v1, s0
	v_lshrrev_b32_e32 v18, 2, v25
	v_lshrrev_b32_e32 v22, v27, v26
	v_cmp_lt_i32_e64 s0, 5, v19
	v_cmp_eq_u32_e64 s1, 3, v19
	v_add_nc_u32_e32 v25, 0xfffffc10, v23
	s_delay_alu instid0(VALU_DEP_4) | instskip(NEXT) | instid1(VALU_DEP_3)
	v_lshlrev_b32_e32 v17, v27, v22
	s_or_b32 s0, s1, s0
	s_wait_alu 0xfffe
	v_add_co_ci_u32_e64 v18, s0, 0, v18, s0
	s_wait_dscnt 0x0
	v_lshrrev_b32_e32 v19, 16, v13
	v_cmp_ne_u32_e64 s2, v17, v26
	v_cmp_ne_u32_e64 s0, 0, v9
	v_mul_f64_e32 v[7:8], s[8:9], v[7:8]
	s_delay_alu instid0(VALU_DEP_4)
	v_mul_f16_e32 v23, v33, v19
	s_wait_alu 0xf1ff
	v_cndmask_b32_e64 v17, 0, 1, s2
	v_cndmask_b32_e64 v9, 0, 1, s0
	v_cmp_gt_i32_e64 s0, 1, v25
	v_fmac_f16_e32 v23, v72, v13
	s_delay_alu instid0(VALU_DEP_4) | instskip(SKIP_4) | instid1(VALU_DEP_3)
	v_or_b32_e32 v17, v22, v17
	v_lshl_or_b32 v22, v25, 12, v11
	v_lshl_or_b32 v9, v9, 9, 0x7c00
	v_and_or_b32 v15, 0x1ff, v16, v15
	s_wait_alu 0xf1ff
	v_cndmask_b32_e64 v26, v22, v17, s0
	v_cvt_f32_f16_e32 v17, v23
	v_cmp_gt_i32_e64 s0, 31, v24
	v_cmp_ne_u32_e64 s1, 0, v15
	s_delay_alu instid0(VALU_DEP_4)
	v_and_b32_e32 v30, 7, v26
	v_lshrrev_b32_e32 v26, 2, v26
	s_wait_alu 0xf1ff
	v_cndmask_b32_e64 v27, 0x7c00, v18, s0
	v_cvt_f64_f32_e32 v[17:18], v17
	v_add_co_u32 v22, s0, v0, s6
	s_wait_alu 0xf1ff
	v_add_co_ci_u32_e64 v23, s0, s7, v1, s0
	v_cmp_eq_u32_e64 s0, 0x40f, v24
	v_cndmask_b32_e64 v15, 0, 1, s1
	v_cmp_eq_u32_e64 s1, 3, v30
	v_lshrrev_b32_e32 v24, 8, v16
	global_store_b32 v[0:1], v28, off
	global_store_b32 v[22:23], v29, off
	s_wait_alu 0xf1ff
	v_cndmask_b32_e64 v9, v27, v9, s0
	v_cmp_lt_i32_e64 s0, 5, v30
	v_bfe_u32 v27, v16, 20, 11
	v_and_or_b32 v15, 0xffe, v24, v15
	v_lshrrev_b32_e32 v16, 16, v16
	v_and_or_b32 v31, 0x8000, v10, v9
	s_or_b32 s0, s1, s0
	v_sub_nc_u32_e32 v24, 0x3f1, v27
	s_wait_alu 0xfffe
	v_add_co_ci_u32_e64 v26, s0, 0, v26, s0
	v_cmp_ne_u32_e64 s0, 0, v11
	v_or_b32_e32 v30, 0x1000, v15
	v_med3_i32 v24, v24, 0, 13
	v_and_or_b32 v7, 0x1ff, v8, v7
	s_wait_alu 0xf1ff
	v_cndmask_b32_e64 v11, 0, 1, s0
	v_cmp_gt_i32_e64 s0, 31, v25
	v_lshrrev_b32_e32 v32, v24, v30
	s_delay_alu instid0(VALU_DEP_3) | instskip(SKIP_1) | instid1(VALU_DEP_3)
	v_lshl_or_b32 v11, v11, 9, 0x7c00
	s_wait_alu 0xf1ff
	v_cndmask_b32_e64 v26, 0x7c00, v26, s0
	v_cmp_eq_u32_e64 s0, 0x40f, v25
	s_wait_alu 0xf1ff
	s_delay_alu instid0(VALU_DEP_1)
	v_cndmask_b32_e64 v25, v26, v11, s0
	v_cmp_ne_u32_e64 s0, 0, v7
	v_lshrrev_b32_e32 v26, 16, v12
	v_lshlrev_b32_e32 v11, v24, v32
	v_mul_f16_e32 v12, v33, v13
	v_lshrrev_b32_e32 v13, 8, v8
	s_wait_alu 0xf1ff
	v_cndmask_b32_e64 v7, 0, 1, s0
	v_bfe_u32 v24, v8, 20, 11
	v_mul_f64_e32 v[9:10], s[8:9], v[17:18]
	v_fma_f16 v12, v72, v19, -v12
	v_cmp_ne_u32_e64 s0, v11, v30
	v_and_or_b32 v7, 0xffe, v13, v7
	v_sub_nc_u32_e32 v13, 0x3f1, v24
	v_add_nc_u32_e32 v19, 0xfffffc10, v27
	v_cvt_f32_f16_e32 v12, v12
	s_wait_alu 0xf1ff
	v_cndmask_b32_e64 v11, 0, 1, s0
	v_or_b32_e32 v27, 0x1000, v7
	v_med3_i32 v13, v13, 0, 13
	v_lshl_or_b32 v18, v19, 12, v15
	v_and_or_b32 v25, 0x8000, v26, v25
	v_or_b32_e32 v17, v32, v11
	v_cvt_f64_f32_e32 v[11:12], v12
	v_and_b32_e32 v26, 0xffff, v31
	v_cmp_gt_i32_e64 s0, 1, v19
	v_lshrrev_b32_e32 v31, v13, v27
	v_lshrrev_b32_e32 v32, 16, v69
	v_cmp_eq_u32_e64 s2, 0x40f, v19
	v_lshl_or_b32 v25, v25, 16, v26
	s_wait_alu 0xf1ff
	v_cndmask_b32_e64 v30, v18, v17, s0
	v_lshlrev_b32_e32 v1, v13, v31
	v_add_co_u32 v17, s0, v22, s6
	v_lshrrev_b32_e32 v13, 16, v14
	s_delay_alu instid0(VALU_DEP_4) | instskip(NEXT) | instid1(VALU_DEP_4)
	v_and_b32_e32 v0, 7, v30
	v_cmp_ne_u32_e64 s1, v1, v27
	s_wait_alu 0xf1ff
	v_add_co_ci_u32_e64 v18, s0, s7, v23, s0
	v_add_nc_u32_e32 v22, 0xfffffc10, v24
	v_cmp_lt_i32_e64 s0, 5, v0
	v_cndmask_b32_e64 v1, 0, 1, s1
	v_cmp_eq_u32_e64 s1, 3, v0
	v_lshrrev_b32_e32 v0, 2, v30
	v_mul_f16_e32 v23, v32, v13
	v_lshl_or_b32 v24, v22, 12, v7
	v_or_b32_e32 v1, v31, v1
	s_or_b32 s0, s1, s0
	v_and_or_b32 v9, 0x1ff, v10, v9
	s_wait_alu 0xfffe
	v_add_co_ci_u32_e64 v26, s0, 0, v0, s0
	v_fmac_f16_e32 v23, v69, v14
	v_cmp_gt_i32_e64 s0, 1, v22
	v_bfe_u32 v27, v10, 20, 11
	v_mul_f16_e32 v14, v32, v14
	v_lshrrev_b32_e32 v8, 16, v8
	v_cvt_f32_f16_e32 v0, v23
	s_wait_alu 0xf1ff
	v_cndmask_b32_e64 v23, v24, v1, s0
	v_cmp_ne_u32_e64 s0, 0, v9
	v_lshrrev_b32_e32 v24, 8, v10
	v_fma_f16 v13, v69, v13, -v14
	v_cvt_f64_f32_e32 v[0:1], v0
	v_mul_f64_e32 v[11:12], s[8:9], v[11:12]
	s_wait_alu 0xf1ff
	v_cndmask_b32_e64 v9, 0, 1, s0
	v_cmp_ne_u32_e64 s0, 0, v15
	v_and_b32_e32 v28, 7, v23
	v_lshrrev_b32_e32 v23, 2, v23
	v_cvt_f32_f16_e32 v13, v13
	v_and_or_b32 v9, 0xffe, v24, v9
	s_wait_alu 0xf1ff
	v_cndmask_b32_e64 v15, 0, 1, s0
	v_cmp_gt_i32_e64 s0, 31, v19
	v_sub_nc_u32_e32 v24, 0x3f1, v27
	v_cmp_eq_u32_e64 s1, 3, v28
	v_or_b32_e32 v29, 0x1000, v9
	v_lshl_or_b32 v15, v15, 9, 0x7c00
	s_wait_alu 0xf1ff
	v_cndmask_b32_e64 v26, 0x7c00, v26, s0
	v_cmp_lt_i32_e64 s0, 5, v28
	v_med3_i32 v24, v24, 0, 13
	s_delay_alu instid0(VALU_DEP_3) | instskip(NEXT) | instid1(VALU_DEP_3)
	v_cndmask_b32_e64 v15, v26, v15, s2
	s_or_b32 s0, s1, s0
	s_delay_alu instid0(VALU_DEP_2)
	v_lshrrev_b32_e32 v19, v24, v29
	s_wait_alu 0xfffe
	v_add_co_ci_u32_e64 v23, s0, 0, v23, s0
	v_cmp_ne_u32_e64 s0, 0, v7
	v_and_or_b32 v15, 0x8000, v16, v15
	v_lshlrev_b32_e32 v24, v24, v19
	s_wait_alu 0xf1ff
	s_delay_alu instid0(VALU_DEP_3) | instskip(SKIP_2) | instid1(VALU_DEP_3)
	v_cndmask_b32_e64 v7, 0, 1, s0
	v_cmp_gt_i32_e64 s0, 31, v22
	v_and_b32_e32 v15, 0xffff, v15
	v_lshl_or_b32 v7, v7, 9, 0x7c00
	s_wait_alu 0xf1ff
	s_delay_alu instid0(VALU_DEP_3)
	v_cndmask_b32_e64 v23, 0x7c00, v23, s0
	v_cmp_ne_u32_e64 s0, v24, v29
	v_lshrrev_b32_e32 v29, 16, v68
	v_mul_f64_e32 v[0:1], s[8:9], v[0:1]
	v_and_or_b32 v11, 0x1ff, v12, v11
	s_wait_alu 0xf1ff
	v_cndmask_b32_e64 v16, 0, 1, s0
	v_cmp_eq_u32_e64 s0, 0x40f, v22
	v_add_nc_u32_e32 v22, 0xfffffc10, v27
	s_delay_alu instid0(VALU_DEP_3) | instskip(SKIP_1) | instid1(VALU_DEP_3)
	v_or_b32_e32 v16, v19, v16
	s_wait_alu 0xf1ff
	v_cndmask_b32_e64 v7, v23, v7, s0
	ds_load_b32 v23, v67 offset:5040
	v_lshl_or_b32 v19, v22, 12, v9
	v_cmp_gt_i32_e64 s0, 1, v22
	v_and_or_b32 v24, 0x8000, v8, v7
	v_cvt_f64_f32_e32 v[7:8], v13
	s_wait_alu 0xf1ff
	s_delay_alu instid0(VALU_DEP_3)
	v_cndmask_b32_e64 v14, v19, v16, s0
	v_cmp_ne_u32_e64 s0, 0, v11
	v_lshrrev_b32_e32 v16, 8, v12
	v_bfe_u32 v19, v12, 20, 11
	v_lshl_or_b32 v24, v24, 16, v15
	v_and_b32_e32 v26, 7, v14
	s_wait_alu 0xf1ff
	v_cndmask_b32_e64 v11, 0, 1, s0
	v_lshrrev_b32_e32 v14, 2, v14
	v_sub_nc_u32_e32 v13, 0x3f1, v19
	v_add_nc_u32_e32 v19, 0xfffffc10, v19
	v_cmp_lt_i32_e64 s0, 5, v26
	v_and_or_b32 v11, 0xffe, v16, v11
	v_cmp_eq_u32_e64 s1, 3, v26
	s_wait_dscnt 0x0
	v_lshrrev_b32_e32 v16, 16, v23
	v_med3_i32 v13, v13, 0, 13
	v_or_b32_e32 v27, 0x1000, v11
	s_or_b32 s0, s1, s0
	s_delay_alu instid0(VALU_DEP_3)
	v_mul_f16_e32 v28, v29, v16
	s_wait_alu 0xfffe
	v_add_co_ci_u32_e64 v14, s0, 0, v14, s0
	v_lshrrev_b32_e32 v15, v13, v27
	v_cmp_ne_u32_e64 s0, 0, v9
	v_fmac_f16_e32 v28, v68, v23
	v_and_or_b32 v0, 0x1ff, v1, v0
	v_mul_f16_e32 v23, v29, v23
	v_lshlrev_b32_e32 v26, v13, v15
	s_wait_alu 0xf1ff
	v_cndmask_b32_e64 v9, 0, 1, s0
	v_cvt_f32_f16_e32 v13, v28
	v_cmp_gt_i32_e64 s0, 31, v22
	v_fma_f16 v16, v68, v16, -v23
	v_lshl_or_b32 v23, v19, 12, v11
	v_lshl_or_b32 v9, v9, 9, 0x7c00
	s_wait_alu 0xf1ff
	v_cndmask_b32_e64 v28, 0x7c00, v14, s0
	v_cvt_f64_f32_e32 v[13:14], v13
	v_cmp_ne_u32_e64 s0, v26, v27
	v_lshrrev_b32_e32 v27, 8, v1
	v_mul_f64_e32 v[7:8], s[8:9], v[7:8]
	v_cvt_f32_f16_e32 v16, v16
	s_wait_alu 0xf1ff
	v_cndmask_b32_e64 v26, 0, 1, s0
	v_cmp_ne_u32_e64 s0, 0, v0
	s_delay_alu instid0(VALU_DEP_2) | instskip(SKIP_1) | instid1(VALU_DEP_2)
	v_or_b32_e32 v15, v15, v26
	s_wait_alu 0xf1ff
	v_cndmask_b32_e64 v0, 0, 1, s0
	v_bfe_u32 v26, v1, 20, 11
	v_cmp_gt_i32_e64 s0, 1, v19
	v_lshrrev_b32_e32 v1, 16, v1
	s_delay_alu instid0(VALU_DEP_4) | instskip(NEXT) | instid1(VALU_DEP_4)
	v_and_or_b32 v0, 0xffe, v27, v0
	v_sub_nc_u32_e32 v27, 0x3f1, v26
	s_wait_alu 0xf1ff
	v_cndmask_b32_e64 v23, v23, v15, s0
	v_cmp_eq_u32_e64 s0, 0x40f, v22
	v_cvt_f64_f32_e32 v[15:16], v16
	v_or_b32_e32 v29, 0x1000, v0
	v_med3_i32 v27, v27, 0, 13
	v_and_b32_e32 v30, 7, v23
	s_wait_alu 0xf1ff
	v_cndmask_b32_e64 v22, v28, v9, s0
	v_add_co_u32 v9, s0, v17, s6
	v_lshrrev_b32_e32 v31, v27, v29
	v_lshrrev_b32_e32 v28, 16, v10
	s_wait_alu 0xf1ff
	v_add_co_ci_u32_e64 v10, s0, s7, v18, s0
	v_cmp_lt_i32_e64 s0, 5, v30
	v_cmp_eq_u32_e64 s1, 3, v30
	v_lshrrev_b32_e32 v23, 2, v23
	v_lshlrev_b32_e32 v27, v27, v31
	v_add_nc_u32_e32 v26, 0xfffffc10, v26
	v_and_or_b32 v22, 0x8000, v28, v22
	s_or_b32 s0, s1, s0
	v_mul_f64_e32 v[13:14], s[8:9], v[13:14]
	s_wait_alu 0xfffe
	v_add_co_ci_u32_e64 v23, s0, 0, v23, s0
	v_cmp_ne_u32_e64 s2, v27, v29
	v_cmp_ne_u32_e64 s0, 0, v11
	v_lshl_or_b32 v28, v26, 12, v0
	v_and_or_b32 v7, 0x1ff, v8, v7
	v_lshrrev_b32_e32 v29, 8, v8
	s_wait_alu 0xf1ff
	v_cndmask_b32_e64 v27, 0, 1, s2
	v_cndmask_b32_e64 v11, 0, 1, s0
	v_cmp_gt_i32_e64 s0, 31, v19
	s_delay_alu instid0(VALU_DEP_3) | instskip(NEXT) | instid1(VALU_DEP_3)
	v_or_b32_e32 v27, v31, v27
	v_lshl_or_b32 v11, v11, 9, 0x7c00
	s_wait_alu 0xf1ff
	s_delay_alu instid0(VALU_DEP_3) | instskip(SKIP_2) | instid1(VALU_DEP_1)
	v_cndmask_b32_e64 v23, 0x7c00, v23, s0
	v_cmp_gt_i32_e64 s0, 1, v26
	s_wait_alu 0xf1ff
	v_cndmask_b32_e64 v27, v28, v27, s0
	v_cmp_eq_u32_e64 s0, 0x40f, v19
	s_delay_alu instid0(VALU_DEP_2) | instskip(SKIP_1) | instid1(VALU_DEP_2)
	v_and_b32_e32 v28, 7, v27
	s_wait_alu 0xf1ff
	v_cndmask_b32_e64 v19, v23, v11, s0
	v_lshrrev_b32_e32 v23, 16, v12
	v_cmp_ne_u32_e64 s0, 0, v7
	v_mul_f64_e32 v[11:12], s[8:9], v[15:16]
	v_bfe_u32 v15, v8, 20, 11
	v_cmp_eq_u32_e64 s1, 3, v28
	v_and_or_b32 v16, 0x8000, v23, v19
	v_and_b32_e32 v19, 0xffff, v22
	s_wait_alu 0xf1ff
	v_cndmask_b32_e64 v7, 0, 1, s0
	v_cmp_lt_i32_e64 s0, 5, v28
	v_sub_nc_u32_e32 v22, 0x3f1, v15
	v_and_or_b32 v13, 0x1ff, v14, v13
	v_lshl_or_b32 v16, v16, 16, v19
	v_lshrrev_b32_e32 v19, 2, v27
	v_and_or_b32 v7, 0xffe, v29, v7
	s_or_b32 s0, s1, s0
	v_med3_i32 v22, v22, 0, 13
	v_lshrrev_b32_e32 v28, 8, v14
	s_wait_alu 0xfffe
	v_add_co_ci_u32_e64 v19, s0, 0, v19, s0
	v_or_b32_e32 v23, 0x1000, v7
	v_cmp_ne_u32_e64 s0, 0, v0
	v_bfe_u32 v29, v14, 20, 11
	v_add_nc_u32_e32 v15, 0xfffffc10, v15
	v_lshrrev_b32_e32 v8, 16, v8
	v_lshrrev_b32_e32 v27, v22, v23
	s_wait_alu 0xf1ff
	v_cndmask_b32_e64 v0, 0, 1, s0
	v_cmp_gt_i32_e64 s0, 31, v26
	v_lshrrev_b32_e32 v14, 16, v14
	v_lshlrev_b32_e32 v22, v22, v27
	s_delay_alu instid0(VALU_DEP_4) | instskip(SKIP_4) | instid1(VALU_DEP_1)
	v_lshl_or_b32 v0, v0, 9, 0x7c00
	s_wait_alu 0xf1ff
	v_cndmask_b32_e64 v19, 0x7c00, v19, s0
	v_cmp_ne_u32_e64 s0, 0, v13
	s_wait_alu 0xf1ff
	v_cndmask_b32_e64 v13, 0, 1, s0
	v_cmp_ne_u32_e64 s0, v22, v23
	v_sub_nc_u32_e32 v23, 0x3f1, v29
	v_and_or_b32 v11, 0x1ff, v12, v11
	s_delay_alu instid0(VALU_DEP_4)
	v_and_or_b32 v13, 0xffe, v28, v13
	s_wait_alu 0xf1ff
	v_cndmask_b32_e64 v22, 0, 1, s0
	v_cmp_eq_u32_e64 s0, 0x40f, v26
	v_med3_i32 v23, v23, 0, 13
	v_bfe_u32 v28, v12, 20, 11
	v_or_b32_e32 v26, 0x1000, v13
	s_wait_alu 0xf1ff
	v_cndmask_b32_e64 v0, v19, v0, s0
	v_or_b32_e32 v19, v27, v22
	v_lshl_or_b32 v22, v15, 12, v7
	v_cmp_gt_i32_e64 s0, 1, v15
	v_lshrrev_b32_e32 v27, 8, v12
	v_and_or_b32 v0, 0x8000, v1, v0
	s_wait_alu 0xf1ff
	s_delay_alu instid0(VALU_DEP_3) | instskip(SKIP_3) | instid1(VALU_DEP_4)
	v_cndmask_b32_e64 v19, v22, v19, s0
	v_lshrrev_b32_e32 v22, v23, v26
	v_cmp_ne_u32_e64 s0, 0, v11
	v_and_b32_e32 v0, 0xffff, v0
	v_and_b32_e32 v30, 7, v19
	s_delay_alu instid0(VALU_DEP_4)
	v_lshlrev_b32_e32 v23, v23, v22
	s_wait_alu 0xf1ff
	v_cndmask_b32_e64 v11, 0, 1, s0
	v_lshrrev_b32_e32 v19, 2, v19
	v_cmp_lt_i32_e64 s0, 5, v30
	v_cmp_ne_u32_e64 s1, v23, v26
	s_delay_alu instid0(VALU_DEP_4)
	v_and_or_b32 v1, 0xffe, v27, v11
	v_sub_nc_u32_e32 v11, 0x3f1, v28
	v_add_nc_u32_e32 v27, 0xfffffc10, v29
	s_wait_alu 0xf1ff
	v_cndmask_b32_e64 v23, 0, 1, s1
	v_cmp_eq_u32_e64 s1, 3, v30
	v_or_b32_e32 v26, 0x1000, v1
	v_med3_i32 v11, v11, 0, 13
	v_lshl_or_b32 v29, v27, 12, v13
	v_or_b32_e32 v22, v22, v23
	s_or_b32 s0, s1, s0
	s_wait_alu 0xfffe
	v_add_co_ci_u32_e64 v19, s0, 0, v19, s0
	v_lshrrev_b32_e32 v23, v11, v26
	v_cmp_gt_i32_e64 s0, 1, v27
	s_delay_alu instid0(VALU_DEP_2) | instskip(SKIP_1) | instid1(VALU_DEP_2)
	v_lshlrev_b32_e32 v11, v11, v23
	s_wait_alu 0xf1ff
	v_cndmask_b32_e64 v22, v29, v22, s0
	v_cmp_ne_u32_e64 s0, 0, v7
	s_wait_alu 0xf1ff
	s_delay_alu instid0(VALU_DEP_1) | instskip(SKIP_3) | instid1(VALU_DEP_4)
	v_cndmask_b32_e64 v7, 0, 1, s0
	v_cmp_ne_u32_e64 s0, v11, v26
	v_add_nc_u32_e32 v26, 0xfffffc10, v28
	v_and_b32_e32 v28, 7, v22
	v_lshl_or_b32 v7, v7, 9, 0x7c00
	s_wait_alu 0xf1ff
	v_cndmask_b32_e64 v11, 0, 1, s0
	v_cmp_gt_i32_e64 s0, 31, v15
	v_cmp_gt_i32_e64 s2, 1, v26
	v_cmp_eq_u32_e64 s1, 3, v28
	s_delay_alu instid0(VALU_DEP_4) | instskip(SKIP_4) | instid1(VALU_DEP_3)
	v_or_b32_e32 v11, v23, v11
	v_lshl_or_b32 v23, v26, 12, v1
	s_wait_alu 0xf1ff
	v_cndmask_b32_e64 v19, 0x7c00, v19, s0
	v_cmp_lt_i32_e64 s0, 5, v28
	v_cndmask_b32_e64 v11, v23, v11, s2
	v_cmp_eq_u32_e64 s2, 0x40f, v15
	v_lshrrev_b32_e32 v15, 2, v22
	s_delay_alu instid0(VALU_DEP_4) | instskip(NEXT) | instid1(VALU_DEP_2)
	s_or_b32 s0, s1, s0
	v_cndmask_b32_e64 v7, v19, v7, s2
	s_wait_alu 0xfffe
	s_delay_alu instid0(VALU_DEP_2) | instskip(SKIP_4) | instid1(VALU_DEP_4)
	v_add_co_ci_u32_e64 v15, s0, 0, v15, s0
	v_and_b32_e32 v19, 7, v11
	v_cmp_ne_u32_e64 s0, 0, v13
	v_lshrrev_b32_e32 v11, 2, v11
	v_cmp_gt_i32_e64 s2, 31, v27
	v_cmp_eq_u32_e64 s1, 3, v19
	s_wait_alu 0xf1ff
	v_cndmask_b32_e64 v13, 0, 1, s0
	v_cmp_lt_i32_e64 s0, 5, v19
	v_cndmask_b32_e64 v15, 0x7c00, v15, s2
	s_delay_alu instid0(VALU_DEP_3) | instskip(NEXT) | instid1(VALU_DEP_3)
	v_lshl_or_b32 v13, v13, 9, 0x7c00
	s_or_b32 s0, s1, s0
	s_wait_alu 0xfffe
	v_add_co_ci_u32_e64 v11, s0, 0, v11, s0
	v_cmp_ne_u32_e64 s0, 0, v1
	s_wait_alu 0xf1ff
	s_delay_alu instid0(VALU_DEP_1) | instskip(SKIP_1) | instid1(VALU_DEP_2)
	v_cndmask_b32_e64 v1, 0, 1, s0
	v_cmp_eq_u32_e64 s0, 0x40f, v27
	v_lshl_or_b32 v1, v1, 9, 0x7c00
	s_wait_alu 0xf1ff
	s_delay_alu instid0(VALU_DEP_2) | instskip(SKIP_2) | instid1(VALU_DEP_3)
	v_cndmask_b32_e64 v13, v15, v13, s0
	v_cmp_gt_i32_e64 s0, 31, v26
	v_and_or_b32 v15, 0x8000, v8, v7
	v_and_or_b32 v13, 0x8000, v14, v13
	s_wait_alu 0xf1ff
	s_delay_alu instid0(VALU_DEP_3) | instskip(SKIP_3) | instid1(VALU_DEP_2)
	v_cndmask_b32_e64 v11, 0x7c00, v11, s0
	v_cmp_eq_u32_e64 s0, 0x40f, v26
	v_lshl_or_b32 v14, v15, 16, v0
	s_wait_alu 0xf1ff
	v_cndmask_b32_e64 v1, v11, v1, s0
	v_lshrrev_b32_e32 v11, 16, v12
	v_add_co_u32 v7, s0, v9, s6
	s_wait_alu 0xf1ff
	v_add_co_ci_u32_e64 v8, s0, s7, v10, s0
	s_delay_alu instid0(VALU_DEP_3) | instskip(SKIP_4) | instid1(VALU_DEP_3)
	v_and_or_b32 v0, 0x8000, v11, v1
	v_and_b32_e32 v1, 0xffff, v13
	v_add_co_u32 v11, s0, v7, s6
	s_wait_alu 0xf1ff
	v_add_co_ci_u32_e64 v12, s0, s7, v8, s0
	v_lshl_or_b32 v13, v0, 16, v1
	s_delay_alu instid0(VALU_DEP_3) | instskip(SKIP_1) | instid1(VALU_DEP_3)
	v_add_co_u32 v0, s0, v11, s6
	s_wait_alu 0xf1ff
	v_add_co_ci_u32_e64 v1, s0, s7, v12, s0
	global_store_b32 v[17:18], v25, off
	global_store_b32 v[9:10], v24, off
	;; [unrolled: 1-line block ×5, first 2 shown]
	s_and_b32 exec_lo, exec_lo, vcc_lo
	s_cbranch_execz .LBB0_23
; %bb.22:
	global_load_b32 v7, v[20:21], off offset:364
	ds_load_b32 v8, v96 offset:364
	v_mad_co_u64_u32 v[0:1], null, 0xffffedbc, s4, v[0:1]
	s_wait_dscnt 0x0
	v_lshrrev_b32_e32 v9, 16, v8
	s_wait_loadcnt 0x0
	v_lshrrev_b32_e32 v10, 16, v7
	s_delay_alu instid0(VALU_DEP_1) | instskip(SKIP_1) | instid1(VALU_DEP_2)
	v_mul_f16_e32 v11, v9, v10
	v_mul_f16_e32 v10, v8, v10
	v_fmac_f16_e32 v11, v8, v7
	s_delay_alu instid0(VALU_DEP_2) | instskip(NEXT) | instid1(VALU_DEP_2)
	v_fma_f16 v7, v7, v9, -v10
	v_cvt_f32_f16_e32 v8, v11
	s_delay_alu instid0(VALU_DEP_2) | instskip(NEXT) | instid1(VALU_DEP_2)
	v_cvt_f32_f16_e32 v9, v7
	v_cvt_f64_f32_e32 v[7:8], v8
	s_delay_alu instid0(VALU_DEP_2) | instskip(NEXT) | instid1(VALU_DEP_2)
	v_cvt_f64_f32_e32 v[9:10], v9
	v_mul_f64_e32 v[7:8], s[8:9], v[7:8]
	s_delay_alu instid0(VALU_DEP_2) | instskip(NEXT) | instid1(VALU_DEP_2)
	v_mul_f64_e32 v[9:10], s[8:9], v[9:10]
	v_and_or_b32 v7, 0x1ff, v8, v7
	s_delay_alu instid0(VALU_DEP_2)
	v_and_or_b32 v9, 0x1ff, v10, v9
	v_lshrrev_b32_e32 v11, 8, v8
	v_bfe_u32 v12, v8, 20, 11
	v_lshrrev_b32_e32 v13, 8, v10
	v_cmp_ne_u32_e32 vcc_lo, 0, v7
	v_bfe_u32 v14, v10, 20, 11
	v_lshrrev_b32_e32 v8, 16, v8
	v_sub_nc_u32_e32 v15, 0x3f1, v12
	v_lshrrev_b32_e32 v10, 16, v10
	s_wait_alu 0xfffd
	v_cndmask_b32_e64 v7, 0, 1, vcc_lo
	v_cmp_ne_u32_e32 vcc_lo, 0, v9
	s_delay_alu instid0(VALU_DEP_2) | instskip(SKIP_3) | instid1(VALU_DEP_2)
	v_and_or_b32 v7, 0xffe, v11, v7
	s_wait_alu 0xfffd
	v_cndmask_b32_e64 v9, 0, 1, vcc_lo
	v_sub_nc_u32_e32 v11, 0x3f1, v14
	v_and_or_b32 v9, 0xffe, v13, v9
	v_med3_i32 v13, v15, 0, 13
	v_or_b32_e32 v15, 0x1000, v7
	s_delay_alu instid0(VALU_DEP_4) | instskip(NEXT) | instid1(VALU_DEP_4)
	v_med3_i32 v11, v11, 0, 13
	v_or_b32_e32 v16, 0x1000, v9
	s_delay_alu instid0(VALU_DEP_3) | instskip(NEXT) | instid1(VALU_DEP_2)
	v_lshrrev_b32_e32 v17, v13, v15
	v_lshrrev_b32_e32 v18, v11, v16
	s_delay_alu instid0(VALU_DEP_2) | instskip(NEXT) | instid1(VALU_DEP_2)
	v_lshlrev_b32_e32 v13, v13, v17
	v_lshlrev_b32_e32 v11, v11, v18
	s_delay_alu instid0(VALU_DEP_2) | instskip(SKIP_2) | instid1(VALU_DEP_3)
	v_cmp_ne_u32_e32 vcc_lo, v13, v15
	s_wait_alu 0xfffd
	v_cndmask_b32_e64 v13, 0, 1, vcc_lo
	v_cmp_ne_u32_e32 vcc_lo, v11, v16
	s_delay_alu instid0(VALU_DEP_2) | instskip(SKIP_3) | instid1(VALU_DEP_2)
	v_or_b32_e32 v13, v17, v13
	v_add_nc_u32_e32 v12, 0xfffffc10, v12
	s_wait_alu 0xfffd
	v_cndmask_b32_e64 v11, 0, 1, vcc_lo
	v_lshl_or_b32 v15, v12, 12, v7
	s_delay_alu instid0(VALU_DEP_2) | instskip(SKIP_2) | instid1(VALU_DEP_2)
	v_or_b32_e32 v11, v18, v11
	v_add_nc_u32_e32 v14, 0xfffffc10, v14
	v_cmp_gt_i32_e32 vcc_lo, 1, v12
	v_lshl_or_b32 v16, v14, 12, v9
	s_wait_alu 0xfffd
	v_cndmask_b32_e32 v13, v15, v13, vcc_lo
	v_cmp_gt_i32_e32 vcc_lo, 1, v14
	s_delay_alu instid0(VALU_DEP_2)
	v_and_b32_e32 v15, 7, v13
	s_wait_alu 0xfffd
	v_cndmask_b32_e32 v11, v16, v11, vcc_lo
	v_cmp_ne_u32_e32 vcc_lo, 0, v7
	v_lshrrev_b32_e32 v13, 2, v13
	v_cmp_eq_u32_e64 s0, 3, v15
	s_wait_alu 0xfffd
	v_cndmask_b32_e64 v7, 0, 1, vcc_lo
	v_cmp_ne_u32_e32 vcc_lo, 0, v9
	s_delay_alu instid0(VALU_DEP_2) | instskip(SKIP_3) | instid1(VALU_DEP_2)
	v_lshl_or_b32 v7, v7, 9, 0x7c00
	s_wait_alu 0xfffd
	v_cndmask_b32_e64 v9, 0, 1, vcc_lo
	v_cmp_lt_i32_e32 vcc_lo, 5, v15
	v_lshl_or_b32 v9, v9, 9, 0x7c00
	s_or_b32 vcc_lo, s0, vcc_lo
	s_mul_i32 s0, s5, 0xffffedbc
	s_wait_alu 0xfffe
	v_add_co_ci_u32_e32 v13, vcc_lo, 0, v13, vcc_lo
	v_and_b32_e32 v16, 7, v11
	v_lshrrev_b32_e32 v11, 2, v11
	s_sub_co_i32 s0, s0, s4
	s_wait_alu 0xfffe
	v_add_nc_u32_e32 v1, s0, v1
	v_cmp_lt_i32_e64 s1, 5, v16
	v_cmp_eq_u32_e64 s2, 3, v16
	s_delay_alu instid0(VALU_DEP_1)
	s_or_b32 vcc_lo, s2, s1
	s_wait_alu 0xfffe
	v_add_co_ci_u32_e32 v11, vcc_lo, 0, v11, vcc_lo
	v_cmp_gt_i32_e32 vcc_lo, 31, v12
	s_wait_alu 0xfffd
	v_cndmask_b32_e32 v13, 0x7c00, v13, vcc_lo
	v_cmp_gt_i32_e32 vcc_lo, 31, v14
	s_wait_alu 0xfffd
	v_cndmask_b32_e32 v11, 0x7c00, v11, vcc_lo
	v_cmp_eq_u32_e32 vcc_lo, 0x40f, v12
	s_wait_alu 0xfffd
	v_cndmask_b32_e32 v7, v13, v7, vcc_lo
	v_cmp_eq_u32_e32 vcc_lo, 0x40f, v14
	s_delay_alu instid0(VALU_DEP_2) | instskip(SKIP_2) | instid1(VALU_DEP_2)
	v_and_or_b32 v7, 0x8000, v8, v7
	s_wait_alu 0xfffd
	v_cndmask_b32_e32 v9, v11, v9, vcc_lo
	v_and_b32_e32 v7, 0xffff, v7
	s_delay_alu instid0(VALU_DEP_2) | instskip(NEXT) | instid1(VALU_DEP_1)
	v_and_or_b32 v8, 0x8000, v10, v9
	v_lshl_or_b32 v7, v8, 16, v7
	global_store_b32 v[0:1], v7, off
	global_load_b32 v8, v[20:21], off offset:784
	ds_load_2addr_b32 v[6:7], v6 offset0:68 offset1:173
	s_wait_dscnt 0x0
	v_lshrrev_b32_e32 v9, 16, v6
	s_wait_loadcnt 0x0
	v_lshrrev_b32_e32 v10, 16, v8
	s_delay_alu instid0(VALU_DEP_1) | instskip(SKIP_1) | instid1(VALU_DEP_2)
	v_mul_f16_e32 v11, v9, v10
	v_mul_f16_e32 v10, v6, v10
	v_fmac_f16_e32 v11, v6, v8
	s_delay_alu instid0(VALU_DEP_2) | instskip(NEXT) | instid1(VALU_DEP_2)
	v_fma_f16 v6, v8, v9, -v10
	v_cvt_f32_f16_e32 v8, v11
	s_delay_alu instid0(VALU_DEP_2) | instskip(NEXT) | instid1(VALU_DEP_2)
	v_cvt_f32_f16_e32 v6, v6
	v_cvt_f64_f32_e32 v[8:9], v8
	s_delay_alu instid0(VALU_DEP_2) | instskip(NEXT) | instid1(VALU_DEP_2)
	v_cvt_f64_f32_e32 v[10:11], v6
	v_mul_f64_e32 v[8:9], s[8:9], v[8:9]
	s_delay_alu instid0(VALU_DEP_2) | instskip(NEXT) | instid1(VALU_DEP_2)
	v_mul_f64_e32 v[10:11], s[8:9], v[10:11]
	v_and_or_b32 v6, 0x1ff, v9, v8
	s_delay_alu instid0(VALU_DEP_2)
	v_and_or_b32 v10, 0x1ff, v11, v10
	v_lshrrev_b32_e32 v8, 8, v9
	v_bfe_u32 v12, v9, 20, 11
	v_lshrrev_b32_e32 v13, 8, v11
	v_cmp_ne_u32_e32 vcc_lo, 0, v6
	v_bfe_u32 v14, v11, 20, 11
	v_lshrrev_b32_e32 v9, 16, v9
	v_sub_nc_u32_e32 v15, 0x3f1, v12
	v_add_nc_u32_e32 v12, 0xfffffc10, v12
	s_wait_alu 0xfffd
	v_cndmask_b32_e64 v6, 0, 1, vcc_lo
	v_cmp_ne_u32_e32 vcc_lo, 0, v10
	v_lshrrev_b32_e32 v11, 16, v11
	s_delay_alu instid0(VALU_DEP_3) | instskip(SKIP_4) | instid1(VALU_DEP_3)
	v_and_or_b32 v6, 0xffe, v8, v6
	s_wait_alu 0xfffd
	v_cndmask_b32_e64 v10, 0, 1, vcc_lo
	v_sub_nc_u32_e32 v8, 0x3f1, v14
	v_add_nc_u32_e32 v14, 0xfffffc10, v14
	v_and_or_b32 v10, 0xffe, v13, v10
	v_med3_i32 v13, v15, 0, 13
	v_or_b32_e32 v15, 0x1000, v6
	v_med3_i32 v8, v8, 0, 13
	s_delay_alu instid0(VALU_DEP_4) | instskip(NEXT) | instid1(VALU_DEP_3)
	v_or_b32_e32 v16, 0x1000, v10
	v_lshrrev_b32_e32 v17, v13, v15
	s_delay_alu instid0(VALU_DEP_2) | instskip(NEXT) | instid1(VALU_DEP_2)
	v_lshrrev_b32_e32 v18, v8, v16
	v_lshlrev_b32_e32 v13, v13, v17
	s_delay_alu instid0(VALU_DEP_2) | instskip(NEXT) | instid1(VALU_DEP_2)
	v_lshlrev_b32_e32 v8, v8, v18
	v_cmp_ne_u32_e32 vcc_lo, v13, v15
	v_lshl_or_b32 v15, v12, 12, v6
	s_wait_alu 0xfffd
	v_cndmask_b32_e64 v13, 0, 1, vcc_lo
	v_cmp_ne_u32_e32 vcc_lo, v8, v16
	v_lshl_or_b32 v16, v14, 12, v10
	s_delay_alu instid0(VALU_DEP_3) | instskip(SKIP_3) | instid1(VALU_DEP_2)
	v_or_b32_e32 v13, v17, v13
	s_wait_alu 0xfffd
	v_cndmask_b32_e64 v8, 0, 1, vcc_lo
	v_cmp_gt_i32_e32 vcc_lo, 1, v12
	v_or_b32_e32 v8, v18, v8
	s_wait_alu 0xfffd
	v_cndmask_b32_e32 v13, v15, v13, vcc_lo
	v_cmp_gt_i32_e32 vcc_lo, 1, v14
	s_wait_alu 0xfffd
	v_cndmask_b32_e32 v8, v16, v8, vcc_lo
	v_cmp_ne_u32_e32 vcc_lo, 0, v6
	s_delay_alu instid0(VALU_DEP_2)
	v_and_b32_e32 v16, 7, v8
	s_wait_alu 0xfffd
	v_cndmask_b32_e64 v6, 0, 1, vcc_lo
	v_and_b32_e32 v15, 7, v13
	v_cmp_ne_u32_e32 vcc_lo, 0, v10
	v_lshrrev_b32_e32 v13, 2, v13
	v_cmp_lt_i32_e64 s1, 5, v16
	v_cmp_eq_u32_e64 s2, 3, v16
	v_cmp_eq_u32_e64 s0, 3, v15
	s_wait_alu 0xfffd
	v_cndmask_b32_e64 v10, 0, 1, vcc_lo
	v_cmp_lt_i32_e32 vcc_lo, 5, v15
	v_lshrrev_b32_e32 v8, 2, v8
	v_lshl_or_b32 v6, v6, 9, 0x7c00
	s_delay_alu instid0(VALU_DEP_4)
	v_lshl_or_b32 v10, v10, 9, 0x7c00
	s_or_b32 vcc_lo, s0, vcc_lo
	s_wait_alu 0xfffe
	v_add_co_ci_u32_e32 v13, vcc_lo, 0, v13, vcc_lo
	s_or_b32 vcc_lo, s2, s1
	s_wait_alu 0xfffe
	v_add_co_ci_u32_e32 v8, vcc_lo, 0, v8, vcc_lo
	v_cmp_gt_i32_e32 vcc_lo, 31, v12
	s_wait_alu 0xfffd
	v_cndmask_b32_e32 v13, 0x7c00, v13, vcc_lo
	v_cmp_gt_i32_e32 vcc_lo, 31, v14
	s_wait_alu 0xfffd
	v_cndmask_b32_e32 v8, 0x7c00, v8, vcc_lo
	v_cmp_eq_u32_e32 vcc_lo, 0x40f, v12
	s_wait_alu 0xfffd
	v_cndmask_b32_e32 v6, v13, v6, vcc_lo
	v_cmp_eq_u32_e32 vcc_lo, 0x40f, v14
	s_delay_alu instid0(VALU_DEP_2)
	v_and_or_b32 v6, 0x8000, v9, v6
	s_wait_alu 0xfffd
	v_cndmask_b32_e32 v8, v8, v10, vcc_lo
	v_add_co_u32 v0, vcc_lo, v0, s6
	s_wait_alu 0xfffd
	v_add_co_ci_u32_e32 v1, vcc_lo, s7, v1, vcc_lo
	s_delay_alu instid0(VALU_DEP_3) | instskip(SKIP_1) | instid1(VALU_DEP_1)
	v_and_or_b32 v8, 0x8000, v11, v8
	v_and_b32_e32 v6, 0xffff, v6
	v_lshl_or_b32 v6, v8, 16, v6
	v_lshrrev_b32_e32 v8, 16, v7
	global_store_b32 v[0:1], v6, off
	global_load_b32 v6, v[20:21], off offset:1204
	s_wait_loadcnt 0x0
	v_lshrrev_b32_e32 v9, 16, v6
	s_delay_alu instid0(VALU_DEP_1) | instskip(SKIP_1) | instid1(VALU_DEP_2)
	v_mul_f16_e32 v10, v8, v9
	v_mul_f16_e32 v9, v7, v9
	v_fmac_f16_e32 v10, v7, v6
	s_delay_alu instid0(VALU_DEP_2) | instskip(NEXT) | instid1(VALU_DEP_2)
	v_fma_f16 v6, v6, v8, -v9
	v_cvt_f32_f16_e32 v7, v10
	s_delay_alu instid0(VALU_DEP_2) | instskip(NEXT) | instid1(VALU_DEP_2)
	v_cvt_f32_f16_e32 v8, v6
	v_cvt_f64_f32_e32 v[6:7], v7
	s_delay_alu instid0(VALU_DEP_2) | instskip(NEXT) | instid1(VALU_DEP_2)
	v_cvt_f64_f32_e32 v[8:9], v8
	v_mul_f64_e32 v[6:7], s[8:9], v[6:7]
	s_delay_alu instid0(VALU_DEP_2) | instskip(NEXT) | instid1(VALU_DEP_2)
	v_mul_f64_e32 v[8:9], s[8:9], v[8:9]
	v_and_or_b32 v6, 0x1ff, v7, v6
	s_delay_alu instid0(VALU_DEP_2)
	v_and_or_b32 v8, 0x1ff, v9, v8
	v_lshrrev_b32_e32 v10, 8, v7
	v_bfe_u32 v11, v7, 20, 11
	v_lshrrev_b32_e32 v12, 8, v9
	v_cmp_ne_u32_e32 vcc_lo, 0, v6
	v_bfe_u32 v13, v9, 20, 11
	v_lshrrev_b32_e32 v7, 16, v7
	v_sub_nc_u32_e32 v14, 0x3f1, v11
	v_add_nc_u32_e32 v11, 0xfffffc10, v11
	s_wait_alu 0xfffd
	v_cndmask_b32_e64 v6, 0, 1, vcc_lo
	v_cmp_ne_u32_e32 vcc_lo, 0, v8
	v_lshrrev_b32_e32 v9, 16, v9
	s_delay_alu instid0(VALU_DEP_3) | instskip(SKIP_4) | instid1(VALU_DEP_3)
	v_and_or_b32 v6, 0xffe, v10, v6
	s_wait_alu 0xfffd
	v_cndmask_b32_e64 v8, 0, 1, vcc_lo
	v_sub_nc_u32_e32 v10, 0x3f1, v13
	v_add_nc_u32_e32 v13, 0xfffffc10, v13
	v_and_or_b32 v8, 0xffe, v12, v8
	v_med3_i32 v12, v14, 0, 13
	v_or_b32_e32 v14, 0x1000, v6
	v_med3_i32 v10, v10, 0, 13
	s_delay_alu instid0(VALU_DEP_4) | instskip(NEXT) | instid1(VALU_DEP_3)
	v_or_b32_e32 v15, 0x1000, v8
	v_lshrrev_b32_e32 v16, v12, v14
	s_delay_alu instid0(VALU_DEP_2) | instskip(NEXT) | instid1(VALU_DEP_2)
	v_lshrrev_b32_e32 v17, v10, v15
	v_lshlrev_b32_e32 v12, v12, v16
	s_delay_alu instid0(VALU_DEP_2) | instskip(NEXT) | instid1(VALU_DEP_2)
	v_lshlrev_b32_e32 v10, v10, v17
	v_cmp_ne_u32_e32 vcc_lo, v12, v14
	v_lshl_or_b32 v14, v11, 12, v6
	s_wait_alu 0xfffd
	v_cndmask_b32_e64 v12, 0, 1, vcc_lo
	v_cmp_ne_u32_e32 vcc_lo, v10, v15
	v_lshl_or_b32 v15, v13, 12, v8
	s_delay_alu instid0(VALU_DEP_3) | instskip(SKIP_3) | instid1(VALU_DEP_2)
	v_or_b32_e32 v12, v16, v12
	s_wait_alu 0xfffd
	v_cndmask_b32_e64 v10, 0, 1, vcc_lo
	v_cmp_gt_i32_e32 vcc_lo, 1, v11
	v_or_b32_e32 v10, v17, v10
	s_wait_alu 0xfffd
	v_cndmask_b32_e32 v12, v14, v12, vcc_lo
	v_cmp_gt_i32_e32 vcc_lo, 1, v13
	s_delay_alu instid0(VALU_DEP_2)
	v_and_b32_e32 v14, 7, v12
	s_wait_alu 0xfffd
	v_cndmask_b32_e32 v10, v15, v10, vcc_lo
	v_cmp_ne_u32_e32 vcc_lo, 0, v6
	v_lshrrev_b32_e32 v12, 2, v12
	v_cmp_eq_u32_e64 s0, 3, v14
	s_delay_alu instid0(VALU_DEP_4)
	v_and_b32_e32 v15, 7, v10
	s_wait_alu 0xfffd
	v_cndmask_b32_e64 v6, 0, 1, vcc_lo
	v_cmp_ne_u32_e32 vcc_lo, 0, v8
	v_lshrrev_b32_e32 v10, 2, v10
	v_cmp_lt_i32_e64 s1, 5, v15
	v_cmp_eq_u32_e64 s2, 3, v15
	s_wait_alu 0xfffd
	v_cndmask_b32_e64 v8, 0, 1, vcc_lo
	v_cmp_lt_i32_e32 vcc_lo, 5, v14
	v_lshl_or_b32 v6, v6, 9, 0x7c00
	s_delay_alu instid0(VALU_DEP_3)
	v_lshl_or_b32 v8, v8, 9, 0x7c00
	s_or_b32 vcc_lo, s0, vcc_lo
	s_wait_alu 0xfffe
	v_add_co_ci_u32_e32 v12, vcc_lo, 0, v12, vcc_lo
	s_or_b32 vcc_lo, s2, s1
	s_wait_alu 0xfffe
	v_add_co_ci_u32_e32 v10, vcc_lo, 0, v10, vcc_lo
	v_cmp_gt_i32_e32 vcc_lo, 31, v11
	s_wait_alu 0xfffd
	v_cndmask_b32_e32 v12, 0x7c00, v12, vcc_lo
	v_cmp_gt_i32_e32 vcc_lo, 31, v13
	s_wait_alu 0xfffd
	v_cndmask_b32_e32 v10, 0x7c00, v10, vcc_lo
	v_cmp_eq_u32_e32 vcc_lo, 0x40f, v11
	s_wait_alu 0xfffd
	v_cndmask_b32_e32 v6, v12, v6, vcc_lo
	v_cmp_eq_u32_e32 vcc_lo, 0x40f, v13
	s_delay_alu instid0(VALU_DEP_2)
	v_and_or_b32 v6, 0x8000, v7, v6
	s_wait_alu 0xfffd
	v_cndmask_b32_e32 v8, v10, v8, vcc_lo
	v_add_co_u32 v0, vcc_lo, v0, s6
	s_wait_alu 0xfffd
	v_add_co_ci_u32_e32 v1, vcc_lo, s7, v1, vcc_lo
	s_delay_alu instid0(VALU_DEP_3) | instskip(SKIP_1) | instid1(VALU_DEP_1)
	v_and_or_b32 v7, 0x8000, v9, v8
	v_and_b32_e32 v6, 0xffff, v6
	v_lshl_or_b32 v6, v7, 16, v6
	global_store_b32 v[0:1], v6, off
	global_load_b32 v7, v[20:21], off offset:1624
	ds_load_2addr_b32 v[5:6], v5 offset0:150 offset1:255
	s_wait_dscnt 0x0
	v_lshrrev_b32_e32 v8, 16, v5
	s_wait_loadcnt 0x0
	v_lshrrev_b32_e32 v9, 16, v7
	s_delay_alu instid0(VALU_DEP_1) | instskip(SKIP_1) | instid1(VALU_DEP_2)
	v_mul_f16_e32 v10, v8, v9
	v_mul_f16_e32 v9, v5, v9
	v_fmac_f16_e32 v10, v5, v7
	s_delay_alu instid0(VALU_DEP_2) | instskip(NEXT) | instid1(VALU_DEP_2)
	v_fma_f16 v5, v7, v8, -v9
	v_cvt_f32_f16_e32 v7, v10
	s_delay_alu instid0(VALU_DEP_2) | instskip(NEXT) | instid1(VALU_DEP_2)
	v_cvt_f32_f16_e32 v5, v5
	v_cvt_f64_f32_e32 v[7:8], v7
	s_delay_alu instid0(VALU_DEP_2) | instskip(NEXT) | instid1(VALU_DEP_2)
	v_cvt_f64_f32_e32 v[9:10], v5
	v_mul_f64_e32 v[7:8], s[8:9], v[7:8]
	s_delay_alu instid0(VALU_DEP_2) | instskip(NEXT) | instid1(VALU_DEP_2)
	v_mul_f64_e32 v[9:10], s[8:9], v[9:10]
	v_and_or_b32 v5, 0x1ff, v8, v7
	s_delay_alu instid0(VALU_DEP_2)
	v_and_or_b32 v9, 0x1ff, v10, v9
	v_lshrrev_b32_e32 v7, 8, v8
	v_bfe_u32 v11, v8, 20, 11
	v_lshrrev_b32_e32 v12, 8, v10
	v_cmp_ne_u32_e32 vcc_lo, 0, v5
	v_bfe_u32 v13, v10, 20, 11
	v_lshrrev_b32_e32 v8, 16, v8
	v_sub_nc_u32_e32 v14, 0x3f1, v11
	v_add_nc_u32_e32 v11, 0xfffffc10, v11
	s_wait_alu 0xfffd
	v_cndmask_b32_e64 v5, 0, 1, vcc_lo
	v_cmp_ne_u32_e32 vcc_lo, 0, v9
	v_lshrrev_b32_e32 v10, 16, v10
	s_delay_alu instid0(VALU_DEP_3) | instskip(SKIP_4) | instid1(VALU_DEP_3)
	v_and_or_b32 v5, 0xffe, v7, v5
	s_wait_alu 0xfffd
	v_cndmask_b32_e64 v9, 0, 1, vcc_lo
	v_sub_nc_u32_e32 v7, 0x3f1, v13
	v_add_nc_u32_e32 v13, 0xfffffc10, v13
	v_and_or_b32 v9, 0xffe, v12, v9
	v_med3_i32 v12, v14, 0, 13
	v_or_b32_e32 v14, 0x1000, v5
	v_med3_i32 v7, v7, 0, 13
	s_delay_alu instid0(VALU_DEP_4) | instskip(NEXT) | instid1(VALU_DEP_3)
	v_or_b32_e32 v15, 0x1000, v9
	v_lshrrev_b32_e32 v16, v12, v14
	s_delay_alu instid0(VALU_DEP_2) | instskip(NEXT) | instid1(VALU_DEP_2)
	v_lshrrev_b32_e32 v17, v7, v15
	v_lshlrev_b32_e32 v12, v12, v16
	s_delay_alu instid0(VALU_DEP_2) | instskip(NEXT) | instid1(VALU_DEP_2)
	v_lshlrev_b32_e32 v7, v7, v17
	v_cmp_ne_u32_e32 vcc_lo, v12, v14
	v_lshl_or_b32 v14, v11, 12, v5
	s_wait_alu 0xfffd
	v_cndmask_b32_e64 v12, 0, 1, vcc_lo
	v_cmp_ne_u32_e32 vcc_lo, v7, v15
	v_lshl_or_b32 v15, v13, 12, v9
	s_delay_alu instid0(VALU_DEP_3) | instskip(SKIP_3) | instid1(VALU_DEP_2)
	v_or_b32_e32 v12, v16, v12
	s_wait_alu 0xfffd
	v_cndmask_b32_e64 v7, 0, 1, vcc_lo
	v_cmp_gt_i32_e32 vcc_lo, 1, v11
	v_or_b32_e32 v7, v17, v7
	s_wait_alu 0xfffd
	v_cndmask_b32_e32 v12, v14, v12, vcc_lo
	v_cmp_gt_i32_e32 vcc_lo, 1, v13
	s_wait_alu 0xfffd
	s_delay_alu instid0(VALU_DEP_2) | instskip(SKIP_2) | instid1(VALU_DEP_3)
	v_dual_cndmask_b32 v7, v15, v7 :: v_dual_and_b32 v14, 7, v12
	v_cmp_ne_u32_e32 vcc_lo, 0, v5
	v_lshrrev_b32_e32 v12, 2, v12
	v_cmp_eq_u32_e64 s0, 3, v14
	s_wait_alu 0xfffd
	v_cndmask_b32_e64 v5, 0, 1, vcc_lo
	v_cmp_ne_u32_e32 vcc_lo, 0, v9
	s_delay_alu instid0(VALU_DEP_2) | instskip(SKIP_3) | instid1(VALU_DEP_2)
	v_lshl_or_b32 v5, v5, 9, 0x7c00
	s_wait_alu 0xfffd
	v_cndmask_b32_e64 v9, 0, 1, vcc_lo
	v_cmp_lt_i32_e32 vcc_lo, 5, v14
	v_lshl_or_b32 v9, v9, 9, 0x7c00
	s_or_b32 vcc_lo, s0, vcc_lo
	s_wait_alu 0xfffe
	v_add_co_ci_u32_e32 v12, vcc_lo, 0, v12, vcc_lo
	v_and_b32_e32 v15, 7, v7
	v_lshrrev_b32_e32 v7, 2, v7
	s_delay_alu instid0(VALU_DEP_2) | instskip(SKIP_1) | instid1(VALU_DEP_1)
	v_cmp_lt_i32_e64 s1, 5, v15
	v_cmp_eq_u32_e64 s2, 3, v15
	s_or_b32 vcc_lo, s2, s1
	s_wait_alu 0xfffe
	v_add_co_ci_u32_e32 v7, vcc_lo, 0, v7, vcc_lo
	v_cmp_gt_i32_e32 vcc_lo, 31, v11
	s_wait_alu 0xfffd
	v_cndmask_b32_e32 v12, 0x7c00, v12, vcc_lo
	v_cmp_gt_i32_e32 vcc_lo, 31, v13
	s_wait_alu 0xfffd
	v_cndmask_b32_e32 v7, 0x7c00, v7, vcc_lo
	v_cmp_eq_u32_e32 vcc_lo, 0x40f, v11
	s_wait_alu 0xfffd
	v_cndmask_b32_e32 v5, v12, v5, vcc_lo
	v_cmp_eq_u32_e32 vcc_lo, 0x40f, v13
	s_delay_alu instid0(VALU_DEP_2)
	v_and_or_b32 v5, 0x8000, v8, v5
	s_wait_alu 0xfffd
	v_cndmask_b32_e32 v7, v7, v9, vcc_lo
	v_add_co_u32 v0, vcc_lo, v0, s6
	s_wait_alu 0xfffd
	v_add_co_ci_u32_e32 v1, vcc_lo, s7, v1, vcc_lo
	s_delay_alu instid0(VALU_DEP_3) | instskip(SKIP_1) | instid1(VALU_DEP_1)
	v_and_or_b32 v7, 0x8000, v10, v7
	v_and_b32_e32 v5, 0xffff, v5
	v_lshl_or_b32 v5, v7, 16, v5
	v_lshrrev_b32_e32 v7, 16, v6
	global_store_b32 v[0:1], v5, off
	global_load_b32 v5, v[20:21], off offset:2044
	s_wait_loadcnt 0x0
	v_lshrrev_b32_e32 v8, 16, v5
	s_delay_alu instid0(VALU_DEP_1) | instskip(SKIP_1) | instid1(VALU_DEP_2)
	v_mul_f16_e32 v9, v7, v8
	v_mul_f16_e32 v8, v6, v8
	v_fmac_f16_e32 v9, v6, v5
	s_delay_alu instid0(VALU_DEP_2) | instskip(NEXT) | instid1(VALU_DEP_2)
	v_fma_f16 v5, v5, v7, -v8
	v_cvt_f32_f16_e32 v6, v9
	s_delay_alu instid0(VALU_DEP_2) | instskip(NEXT) | instid1(VALU_DEP_2)
	v_cvt_f32_f16_e32 v7, v5
	v_cvt_f64_f32_e32 v[5:6], v6
	s_delay_alu instid0(VALU_DEP_2) | instskip(NEXT) | instid1(VALU_DEP_2)
	v_cvt_f64_f32_e32 v[7:8], v7
	v_mul_f64_e32 v[5:6], s[8:9], v[5:6]
	s_delay_alu instid0(VALU_DEP_2) | instskip(NEXT) | instid1(VALU_DEP_2)
	v_mul_f64_e32 v[7:8], s[8:9], v[7:8]
	v_and_or_b32 v5, 0x1ff, v6, v5
	s_delay_alu instid0(VALU_DEP_2)
	v_and_or_b32 v7, 0x1ff, v8, v7
	v_lshrrev_b32_e32 v9, 8, v6
	v_bfe_u32 v10, v6, 20, 11
	v_lshrrev_b32_e32 v11, 8, v8
	v_cmp_ne_u32_e32 vcc_lo, 0, v5
	v_bfe_u32 v12, v8, 20, 11
	v_lshrrev_b32_e32 v6, 16, v6
	v_sub_nc_u32_e32 v13, 0x3f1, v10
	v_lshrrev_b32_e32 v8, 16, v8
	s_wait_alu 0xfffd
	v_cndmask_b32_e64 v5, 0, 1, vcc_lo
	v_cmp_ne_u32_e32 vcc_lo, 0, v7
	s_delay_alu instid0(VALU_DEP_2) | instskip(SKIP_4) | instid1(VALU_DEP_3)
	v_and_or_b32 v5, 0xffe, v9, v5
	s_wait_alu 0xfffd
	v_cndmask_b32_e64 v7, 0, 1, vcc_lo
	v_sub_nc_u32_e32 v9, 0x3f1, v12
	v_add_nc_u32_e32 v12, 0xfffffc10, v12
	v_and_or_b32 v7, 0xffe, v11, v7
	v_med3_i32 v11, v13, 0, 13
	v_or_b32_e32 v13, 0x1000, v5
	v_med3_i32 v9, v9, 0, 13
	s_delay_alu instid0(VALU_DEP_4) | instskip(NEXT) | instid1(VALU_DEP_3)
	v_or_b32_e32 v14, 0x1000, v7
	v_lshrrev_b32_e32 v15, v11, v13
	s_delay_alu instid0(VALU_DEP_2) | instskip(NEXT) | instid1(VALU_DEP_2)
	v_lshrrev_b32_e32 v16, v9, v14
	v_lshlrev_b32_e32 v11, v11, v15
	s_delay_alu instid0(VALU_DEP_2) | instskip(NEXT) | instid1(VALU_DEP_2)
	v_lshlrev_b32_e32 v9, v9, v16
	v_cmp_ne_u32_e32 vcc_lo, v11, v13
	s_wait_alu 0xfffd
	v_cndmask_b32_e64 v11, 0, 1, vcc_lo
	s_delay_alu instid0(VALU_DEP_3) | instskip(SKIP_1) | instid1(VALU_DEP_3)
	v_cmp_ne_u32_e32 vcc_lo, v9, v14
	v_lshl_or_b32 v14, v12, 12, v7
	v_or_b32_e32 v11, v15, v11
	s_wait_alu 0xfffd
	v_cndmask_b32_e64 v9, 0, 1, vcc_lo
	s_delay_alu instid0(VALU_DEP_1) | instskip(SKIP_1) | instid1(VALU_DEP_1)
	v_or_b32_e32 v9, v16, v9
	v_add_nc_u32_e32 v10, 0xfffffc10, v10
	v_lshl_or_b32 v13, v10, 12, v5
	v_cmp_gt_i32_e32 vcc_lo, 1, v10
	s_wait_alu 0xfffd
	s_delay_alu instid0(VALU_DEP_2) | instskip(SKIP_1) | instid1(VALU_DEP_2)
	v_cndmask_b32_e32 v11, v13, v11, vcc_lo
	v_cmp_gt_i32_e32 vcc_lo, 1, v12
	v_and_b32_e32 v13, 7, v11
	s_wait_alu 0xfffd
	v_cndmask_b32_e32 v9, v14, v9, vcc_lo
	v_cmp_ne_u32_e32 vcc_lo, 0, v5
	v_lshrrev_b32_e32 v11, 2, v11
	v_cmp_eq_u32_e64 s0, 3, v13
	s_wait_alu 0xfffd
	v_cndmask_b32_e64 v5, 0, 1, vcc_lo
	v_cmp_ne_u32_e32 vcc_lo, 0, v7
	s_delay_alu instid0(VALU_DEP_2) | instskip(SKIP_3) | instid1(VALU_DEP_2)
	v_lshl_or_b32 v5, v5, 9, 0x7c00
	s_wait_alu 0xfffd
	v_cndmask_b32_e64 v7, 0, 1, vcc_lo
	v_cmp_lt_i32_e32 vcc_lo, 5, v13
	v_lshl_or_b32 v7, v7, 9, 0x7c00
	v_and_b32_e32 v14, 7, v9
	v_lshrrev_b32_e32 v9, 2, v9
	s_or_b32 vcc_lo, s0, vcc_lo
	s_wait_alu 0xfffe
	v_add_co_ci_u32_e32 v11, vcc_lo, 0, v11, vcc_lo
	v_cmp_lt_i32_e64 s1, 5, v14
	v_cmp_eq_u32_e64 s2, 3, v14
	s_delay_alu instid0(VALU_DEP_1)
	s_or_b32 vcc_lo, s2, s1
	s_wait_alu 0xfffe
	v_add_co_ci_u32_e32 v9, vcc_lo, 0, v9, vcc_lo
	v_cmp_gt_i32_e32 vcc_lo, 31, v10
	s_wait_alu 0xfffd
	v_cndmask_b32_e32 v11, 0x7c00, v11, vcc_lo
	v_cmp_gt_i32_e32 vcc_lo, 31, v12
	s_wait_alu 0xfffd
	v_cndmask_b32_e32 v9, 0x7c00, v9, vcc_lo
	v_cmp_eq_u32_e32 vcc_lo, 0x40f, v10
	s_wait_alu 0xfffd
	v_cndmask_b32_e32 v5, v11, v5, vcc_lo
	v_cmp_eq_u32_e32 vcc_lo, 0x40f, v12
	s_delay_alu instid0(VALU_DEP_2)
	v_and_or_b32 v5, 0x8000, v6, v5
	s_wait_alu 0xfffd
	v_cndmask_b32_e32 v7, v9, v7, vcc_lo
	v_add_co_u32 v0, vcc_lo, v0, s6
	s_wait_alu 0xfffd
	v_add_co_ci_u32_e32 v1, vcc_lo, s7, v1, vcc_lo
	s_delay_alu instid0(VALU_DEP_3) | instskip(SKIP_1) | instid1(VALU_DEP_1)
	v_and_or_b32 v6, 0x8000, v8, v7
	v_and_b32_e32 v5, 0xffff, v5
	v_lshl_or_b32 v5, v6, 16, v5
	global_store_b32 v[0:1], v5, off
	global_load_b32 v6, v[20:21], off offset:2464
	ds_load_2addr_b32 v[4:5], v4 offset0:104 offset1:209
	s_wait_dscnt 0x0
	v_lshrrev_b32_e32 v7, 16, v4
	s_wait_loadcnt 0x0
	v_lshrrev_b32_e32 v8, 16, v6
	s_delay_alu instid0(VALU_DEP_1) | instskip(SKIP_1) | instid1(VALU_DEP_2)
	v_mul_f16_e32 v9, v7, v8
	v_mul_f16_e32 v8, v4, v8
	v_fmac_f16_e32 v9, v4, v6
	s_delay_alu instid0(VALU_DEP_2) | instskip(NEXT) | instid1(VALU_DEP_2)
	v_fma_f16 v4, v6, v7, -v8
	v_cvt_f32_f16_e32 v6, v9
	s_delay_alu instid0(VALU_DEP_2) | instskip(NEXT) | instid1(VALU_DEP_2)
	v_cvt_f32_f16_e32 v4, v4
	v_cvt_f64_f32_e32 v[6:7], v6
	s_delay_alu instid0(VALU_DEP_2) | instskip(NEXT) | instid1(VALU_DEP_2)
	v_cvt_f64_f32_e32 v[8:9], v4
	v_mul_f64_e32 v[6:7], s[8:9], v[6:7]
	s_delay_alu instid0(VALU_DEP_2) | instskip(NEXT) | instid1(VALU_DEP_2)
	v_mul_f64_e32 v[8:9], s[8:9], v[8:9]
	v_and_or_b32 v4, 0x1ff, v7, v6
	s_delay_alu instid0(VALU_DEP_2)
	v_and_or_b32 v8, 0x1ff, v9, v8
	v_lshrrev_b32_e32 v6, 8, v7
	v_bfe_u32 v10, v7, 20, 11
	v_lshrrev_b32_e32 v11, 8, v9
	v_cmp_ne_u32_e32 vcc_lo, 0, v4
	v_bfe_u32 v12, v9, 20, 11
	v_lshrrev_b32_e32 v7, 16, v7
	v_sub_nc_u32_e32 v13, 0x3f1, v10
	v_lshrrev_b32_e32 v9, 16, v9
	s_wait_alu 0xfffd
	v_cndmask_b32_e64 v4, 0, 1, vcc_lo
	v_cmp_ne_u32_e32 vcc_lo, 0, v8
	s_delay_alu instid0(VALU_DEP_2) | instskip(SKIP_4) | instid1(VALU_DEP_3)
	v_and_or_b32 v4, 0xffe, v6, v4
	s_wait_alu 0xfffd
	v_cndmask_b32_e64 v8, 0, 1, vcc_lo
	v_sub_nc_u32_e32 v6, 0x3f1, v12
	v_add_nc_u32_e32 v12, 0xfffffc10, v12
	v_and_or_b32 v8, 0xffe, v11, v8
	v_med3_i32 v11, v13, 0, 13
	v_or_b32_e32 v13, 0x1000, v4
	v_med3_i32 v6, v6, 0, 13
	s_delay_alu instid0(VALU_DEP_4) | instskip(NEXT) | instid1(VALU_DEP_3)
	v_or_b32_e32 v14, 0x1000, v8
	v_lshrrev_b32_e32 v15, v11, v13
	s_delay_alu instid0(VALU_DEP_2) | instskip(NEXT) | instid1(VALU_DEP_2)
	v_lshrrev_b32_e32 v16, v6, v14
	v_lshlrev_b32_e32 v11, v11, v15
	s_delay_alu instid0(VALU_DEP_2) | instskip(NEXT) | instid1(VALU_DEP_2)
	v_lshlrev_b32_e32 v6, v6, v16
	v_cmp_ne_u32_e32 vcc_lo, v11, v13
	s_wait_alu 0xfffd
	v_cndmask_b32_e64 v11, 0, 1, vcc_lo
	s_delay_alu instid0(VALU_DEP_3) | instskip(SKIP_1) | instid1(VALU_DEP_3)
	v_cmp_ne_u32_e32 vcc_lo, v6, v14
	v_lshl_or_b32 v14, v12, 12, v8
	v_or_b32_e32 v11, v15, v11
	v_add_nc_u32_e32 v10, 0xfffffc10, v10
	s_wait_alu 0xfffd
	v_cndmask_b32_e64 v6, 0, 1, vcc_lo
	s_delay_alu instid0(VALU_DEP_2) | instskip(SKIP_1) | instid1(VALU_DEP_3)
	v_lshl_or_b32 v13, v10, 12, v4
	v_cmp_gt_i32_e32 vcc_lo, 1, v10
	v_or_b32_e32 v6, v16, v6
	s_wait_alu 0xfffd
	s_delay_alu instid0(VALU_DEP_3) | instskip(SKIP_2) | instid1(VALU_DEP_2)
	v_cndmask_b32_e32 v11, v13, v11, vcc_lo
	v_cmp_gt_i32_e32 vcc_lo, 1, v12
	s_wait_alu 0xfffd
	v_dual_cndmask_b32 v6, v14, v6 :: v_dual_and_b32 v13, 7, v11
	v_cmp_ne_u32_e32 vcc_lo, 0, v4
	v_lshrrev_b32_e32 v11, 2, v11
	s_delay_alu instid0(VALU_DEP_3) | instskip(SKIP_3) | instid1(VALU_DEP_2)
	v_cmp_eq_u32_e64 s0, 3, v13
	s_wait_alu 0xfffd
	v_cndmask_b32_e64 v4, 0, 1, vcc_lo
	v_cmp_ne_u32_e32 vcc_lo, 0, v8
	v_lshl_or_b32 v4, v4, 9, 0x7c00
	s_wait_alu 0xfffd
	v_cndmask_b32_e64 v8, 0, 1, vcc_lo
	v_cmp_lt_i32_e32 vcc_lo, 5, v13
	s_delay_alu instid0(VALU_DEP_2)
	v_lshl_or_b32 v8, v8, 9, 0x7c00
	s_or_b32 vcc_lo, s0, vcc_lo
	s_wait_alu 0xfffe
	v_add_co_ci_u32_e32 v11, vcc_lo, 0, v11, vcc_lo
	v_and_b32_e32 v14, 7, v6
	v_lshrrev_b32_e32 v6, 2, v6
	s_delay_alu instid0(VALU_DEP_2) | instskip(SKIP_1) | instid1(VALU_DEP_1)
	v_cmp_lt_i32_e64 s1, 5, v14
	v_cmp_eq_u32_e64 s2, 3, v14
	s_or_b32 vcc_lo, s2, s1
	s_wait_alu 0xfffe
	v_add_co_ci_u32_e32 v6, vcc_lo, 0, v6, vcc_lo
	v_cmp_gt_i32_e32 vcc_lo, 31, v10
	s_wait_alu 0xfffd
	v_cndmask_b32_e32 v11, 0x7c00, v11, vcc_lo
	v_cmp_gt_i32_e32 vcc_lo, 31, v12
	s_wait_alu 0xfffd
	v_cndmask_b32_e32 v6, 0x7c00, v6, vcc_lo
	v_cmp_eq_u32_e32 vcc_lo, 0x40f, v10
	s_wait_alu 0xfffd
	v_cndmask_b32_e32 v4, v11, v4, vcc_lo
	v_cmp_eq_u32_e32 vcc_lo, 0x40f, v12
	s_delay_alu instid0(VALU_DEP_2)
	v_and_or_b32 v4, 0x8000, v7, v4
	s_wait_alu 0xfffd
	v_cndmask_b32_e32 v6, v6, v8, vcc_lo
	v_add_co_u32 v0, vcc_lo, v0, s6
	s_wait_alu 0xfffd
	v_add_co_ci_u32_e32 v1, vcc_lo, s7, v1, vcc_lo
	s_delay_alu instid0(VALU_DEP_3) | instskip(SKIP_1) | instid1(VALU_DEP_1)
	v_and_or_b32 v6, 0x8000, v9, v6
	v_and_b32_e32 v4, 0xffff, v4
	v_lshl_or_b32 v4, v6, 16, v4
	v_lshrrev_b32_e32 v6, 16, v5
	global_store_b32 v[0:1], v4, off
	global_load_b32 v4, v[20:21], off offset:2884
	s_wait_loadcnt 0x0
	v_lshrrev_b32_e32 v7, 16, v4
	s_delay_alu instid0(VALU_DEP_1) | instskip(SKIP_1) | instid1(VALU_DEP_2)
	v_mul_f16_e32 v8, v6, v7
	v_mul_f16_e32 v7, v5, v7
	v_fmac_f16_e32 v8, v5, v4
	s_delay_alu instid0(VALU_DEP_2) | instskip(NEXT) | instid1(VALU_DEP_2)
	v_fma_f16 v4, v4, v6, -v7
	v_cvt_f32_f16_e32 v5, v8
	s_delay_alu instid0(VALU_DEP_2) | instskip(NEXT) | instid1(VALU_DEP_2)
	v_cvt_f32_f16_e32 v6, v4
	v_cvt_f64_f32_e32 v[4:5], v5
	s_delay_alu instid0(VALU_DEP_2) | instskip(NEXT) | instid1(VALU_DEP_2)
	v_cvt_f64_f32_e32 v[6:7], v6
	v_mul_f64_e32 v[4:5], s[8:9], v[4:5]
	s_delay_alu instid0(VALU_DEP_2) | instskip(NEXT) | instid1(VALU_DEP_2)
	v_mul_f64_e32 v[6:7], s[8:9], v[6:7]
	v_and_or_b32 v4, 0x1ff, v5, v4
	s_delay_alu instid0(VALU_DEP_2)
	v_and_or_b32 v6, 0x1ff, v7, v6
	v_lshrrev_b32_e32 v8, 8, v5
	v_bfe_u32 v9, v5, 20, 11
	v_lshrrev_b32_e32 v10, 8, v7
	v_cmp_ne_u32_e32 vcc_lo, 0, v4
	v_bfe_u32 v11, v7, 20, 11
	v_lshrrev_b32_e32 v5, 16, v5
	v_sub_nc_u32_e32 v12, 0x3f1, v9
	v_add_nc_u32_e32 v9, 0xfffffc10, v9
	s_wait_alu 0xfffd
	v_cndmask_b32_e64 v4, 0, 1, vcc_lo
	v_cmp_ne_u32_e32 vcc_lo, 0, v6
	v_lshrrev_b32_e32 v7, 16, v7
	s_delay_alu instid0(VALU_DEP_3) | instskip(SKIP_4) | instid1(VALU_DEP_3)
	v_and_or_b32 v4, 0xffe, v8, v4
	s_wait_alu 0xfffd
	v_cndmask_b32_e64 v6, 0, 1, vcc_lo
	v_sub_nc_u32_e32 v8, 0x3f1, v11
	v_add_nc_u32_e32 v11, 0xfffffc10, v11
	v_and_or_b32 v6, 0xffe, v10, v6
	v_med3_i32 v10, v12, 0, 13
	v_or_b32_e32 v12, 0x1000, v4
	v_med3_i32 v8, v8, 0, 13
	s_delay_alu instid0(VALU_DEP_4) | instskip(NEXT) | instid1(VALU_DEP_3)
	v_or_b32_e32 v13, 0x1000, v6
	v_lshrrev_b32_e32 v14, v10, v12
	s_delay_alu instid0(VALU_DEP_2) | instskip(NEXT) | instid1(VALU_DEP_2)
	v_lshrrev_b32_e32 v15, v8, v13
	v_lshlrev_b32_e32 v10, v10, v14
	s_delay_alu instid0(VALU_DEP_2) | instskip(NEXT) | instid1(VALU_DEP_2)
	v_lshlrev_b32_e32 v8, v8, v15
	v_cmp_ne_u32_e32 vcc_lo, v10, v12
	v_lshl_or_b32 v12, v9, 12, v4
	s_wait_alu 0xfffd
	v_cndmask_b32_e64 v10, 0, 1, vcc_lo
	v_cmp_ne_u32_e32 vcc_lo, v8, v13
	v_lshl_or_b32 v13, v11, 12, v6
	s_delay_alu instid0(VALU_DEP_3) | instskip(SKIP_3) | instid1(VALU_DEP_2)
	v_or_b32_e32 v10, v14, v10
	s_wait_alu 0xfffd
	v_cndmask_b32_e64 v8, 0, 1, vcc_lo
	v_cmp_gt_i32_e32 vcc_lo, 1, v9
	v_or_b32_e32 v8, v15, v8
	s_wait_alu 0xfffd
	v_cndmask_b32_e32 v10, v12, v10, vcc_lo
	v_cmp_gt_i32_e32 vcc_lo, 1, v11
	s_delay_alu instid0(VALU_DEP_2)
	v_and_b32_e32 v12, 7, v10
	s_wait_alu 0xfffd
	v_cndmask_b32_e32 v8, v13, v8, vcc_lo
	v_cmp_ne_u32_e32 vcc_lo, 0, v4
	v_lshrrev_b32_e32 v10, 2, v10
	v_cmp_eq_u32_e64 s0, 3, v12
	s_delay_alu instid0(VALU_DEP_4)
	v_and_b32_e32 v13, 7, v8
	s_wait_alu 0xfffd
	v_cndmask_b32_e64 v4, 0, 1, vcc_lo
	v_cmp_ne_u32_e32 vcc_lo, 0, v6
	v_lshrrev_b32_e32 v8, 2, v8
	v_cmp_lt_i32_e64 s1, 5, v13
	v_cmp_eq_u32_e64 s2, 3, v13
	s_wait_alu 0xfffd
	v_cndmask_b32_e64 v6, 0, 1, vcc_lo
	v_cmp_lt_i32_e32 vcc_lo, 5, v12
	v_lshl_or_b32 v4, v4, 9, 0x7c00
	s_delay_alu instid0(VALU_DEP_3)
	v_lshl_or_b32 v6, v6, 9, 0x7c00
	s_or_b32 vcc_lo, s0, vcc_lo
	s_wait_alu 0xfffe
	v_add_co_ci_u32_e32 v10, vcc_lo, 0, v10, vcc_lo
	s_or_b32 vcc_lo, s2, s1
	s_wait_alu 0xfffe
	v_add_co_ci_u32_e32 v8, vcc_lo, 0, v8, vcc_lo
	v_cmp_gt_i32_e32 vcc_lo, 31, v9
	s_wait_alu 0xfffd
	v_cndmask_b32_e32 v10, 0x7c00, v10, vcc_lo
	v_cmp_gt_i32_e32 vcc_lo, 31, v11
	s_wait_alu 0xfffd
	v_cndmask_b32_e32 v8, 0x7c00, v8, vcc_lo
	v_cmp_eq_u32_e32 vcc_lo, 0x40f, v9
	s_wait_alu 0xfffd
	v_cndmask_b32_e32 v4, v10, v4, vcc_lo
	v_cmp_eq_u32_e32 vcc_lo, 0x40f, v11
	s_delay_alu instid0(VALU_DEP_2)
	v_and_or_b32 v4, 0x8000, v5, v4
	s_wait_alu 0xfffd
	v_cndmask_b32_e32 v6, v8, v6, vcc_lo
	v_add_co_u32 v0, vcc_lo, v0, s6
	s_wait_alu 0xfffd
	v_add_co_ci_u32_e32 v1, vcc_lo, s7, v1, vcc_lo
	s_delay_alu instid0(VALU_DEP_3) | instskip(SKIP_1) | instid1(VALU_DEP_1)
	v_and_or_b32 v5, 0x8000, v7, v6
	v_and_b32_e32 v4, 0xffff, v4
	v_lshl_or_b32 v4, v5, 16, v4
	global_store_b32 v[0:1], v4, off
	global_load_b32 v5, v[20:21], off offset:3304
	ds_load_2addr_b32 v[3:4], v3 offset0:58 offset1:163
	s_wait_dscnt 0x0
	v_lshrrev_b32_e32 v6, 16, v3
	s_wait_loadcnt 0x0
	v_lshrrev_b32_e32 v7, 16, v5
	s_delay_alu instid0(VALU_DEP_1) | instskip(SKIP_1) | instid1(VALU_DEP_2)
	v_mul_f16_e32 v8, v6, v7
	v_mul_f16_e32 v7, v3, v7
	v_fmac_f16_e32 v8, v3, v5
	s_delay_alu instid0(VALU_DEP_2) | instskip(NEXT) | instid1(VALU_DEP_2)
	v_fma_f16 v3, v5, v6, -v7
	v_cvt_f32_f16_e32 v5, v8
	s_delay_alu instid0(VALU_DEP_2) | instskip(NEXT) | instid1(VALU_DEP_2)
	v_cvt_f32_f16_e32 v3, v3
	v_cvt_f64_f32_e32 v[5:6], v5
	s_delay_alu instid0(VALU_DEP_2) | instskip(NEXT) | instid1(VALU_DEP_2)
	v_cvt_f64_f32_e32 v[7:8], v3
	v_mul_f64_e32 v[5:6], s[8:9], v[5:6]
	s_delay_alu instid0(VALU_DEP_2) | instskip(NEXT) | instid1(VALU_DEP_2)
	v_mul_f64_e32 v[7:8], s[8:9], v[7:8]
	v_and_or_b32 v3, 0x1ff, v6, v5
	s_delay_alu instid0(VALU_DEP_2)
	v_and_or_b32 v7, 0x1ff, v8, v7
	v_lshrrev_b32_e32 v5, 8, v6
	v_bfe_u32 v9, v6, 20, 11
	v_lshrrev_b32_e32 v10, 8, v8
	v_cmp_ne_u32_e32 vcc_lo, 0, v3
	v_bfe_u32 v11, v8, 20, 11
	v_lshrrev_b32_e32 v6, 16, v6
	v_sub_nc_u32_e32 v12, 0x3f1, v9
	v_add_nc_u32_e32 v9, 0xfffffc10, v9
	s_wait_alu 0xfffd
	v_cndmask_b32_e64 v3, 0, 1, vcc_lo
	v_cmp_ne_u32_e32 vcc_lo, 0, v7
	v_lshrrev_b32_e32 v8, 16, v8
	s_delay_alu instid0(VALU_DEP_3) | instskip(SKIP_4) | instid1(VALU_DEP_3)
	v_and_or_b32 v3, 0xffe, v5, v3
	s_wait_alu 0xfffd
	v_cndmask_b32_e64 v7, 0, 1, vcc_lo
	v_sub_nc_u32_e32 v5, 0x3f1, v11
	v_add_nc_u32_e32 v11, 0xfffffc10, v11
	v_and_or_b32 v7, 0xffe, v10, v7
	v_med3_i32 v10, v12, 0, 13
	v_or_b32_e32 v12, 0x1000, v3
	v_med3_i32 v5, v5, 0, 13
	s_delay_alu instid0(VALU_DEP_4) | instskip(NEXT) | instid1(VALU_DEP_3)
	v_or_b32_e32 v13, 0x1000, v7
	v_lshrrev_b32_e32 v14, v10, v12
	s_delay_alu instid0(VALU_DEP_2) | instskip(NEXT) | instid1(VALU_DEP_2)
	v_lshrrev_b32_e32 v15, v5, v13
	v_lshlrev_b32_e32 v10, v10, v14
	s_delay_alu instid0(VALU_DEP_2) | instskip(NEXT) | instid1(VALU_DEP_2)
	v_lshlrev_b32_e32 v5, v5, v15
	v_cmp_ne_u32_e32 vcc_lo, v10, v12
	v_lshl_or_b32 v12, v9, 12, v3
	s_wait_alu 0xfffd
	v_cndmask_b32_e64 v10, 0, 1, vcc_lo
	v_cmp_ne_u32_e32 vcc_lo, v5, v13
	v_lshl_or_b32 v13, v11, 12, v7
	s_delay_alu instid0(VALU_DEP_3) | instskip(SKIP_3) | instid1(VALU_DEP_2)
	v_or_b32_e32 v10, v14, v10
	s_wait_alu 0xfffd
	v_cndmask_b32_e64 v5, 0, 1, vcc_lo
	v_cmp_gt_i32_e32 vcc_lo, 1, v9
	v_or_b32_e32 v5, v15, v5
	s_wait_alu 0xfffd
	v_cndmask_b32_e32 v10, v12, v10, vcc_lo
	v_cmp_gt_i32_e32 vcc_lo, 1, v11
	s_wait_alu 0xfffd
	s_delay_alu instid0(VALU_DEP_2) | instskip(SKIP_2) | instid1(VALU_DEP_3)
	v_dual_cndmask_b32 v5, v13, v5 :: v_dual_and_b32 v12, 7, v10
	v_cmp_ne_u32_e32 vcc_lo, 0, v3
	v_lshrrev_b32_e32 v10, 2, v10
	v_cmp_eq_u32_e64 s0, 3, v12
	s_delay_alu instid0(VALU_DEP_4)
	v_and_b32_e32 v13, 7, v5
	s_wait_alu 0xfffd
	v_cndmask_b32_e64 v3, 0, 1, vcc_lo
	v_cmp_ne_u32_e32 vcc_lo, 0, v7
	v_lshrrev_b32_e32 v5, 2, v5
	v_cmp_lt_i32_e64 s1, 5, v13
	v_cmp_eq_u32_e64 s2, 3, v13
	s_wait_alu 0xfffd
	v_cndmask_b32_e64 v7, 0, 1, vcc_lo
	v_cmp_lt_i32_e32 vcc_lo, 5, v12
	v_lshl_or_b32 v3, v3, 9, 0x7c00
	s_delay_alu instid0(VALU_DEP_3)
	v_lshl_or_b32 v7, v7, 9, 0x7c00
	s_or_b32 vcc_lo, s0, vcc_lo
	s_wait_alu 0xfffe
	v_add_co_ci_u32_e32 v10, vcc_lo, 0, v10, vcc_lo
	s_or_b32 vcc_lo, s2, s1
	s_wait_alu 0xfffe
	v_add_co_ci_u32_e32 v5, vcc_lo, 0, v5, vcc_lo
	v_cmp_gt_i32_e32 vcc_lo, 31, v9
	s_wait_alu 0xfffd
	v_cndmask_b32_e32 v10, 0x7c00, v10, vcc_lo
	v_cmp_gt_i32_e32 vcc_lo, 31, v11
	s_wait_alu 0xfffd
	v_cndmask_b32_e32 v5, 0x7c00, v5, vcc_lo
	v_cmp_eq_u32_e32 vcc_lo, 0x40f, v9
	s_wait_alu 0xfffd
	v_cndmask_b32_e32 v3, v10, v3, vcc_lo
	v_cmp_eq_u32_e32 vcc_lo, 0x40f, v11
	s_delay_alu instid0(VALU_DEP_2)
	v_and_or_b32 v3, 0x8000, v6, v3
	s_wait_alu 0xfffd
	v_cndmask_b32_e32 v5, v5, v7, vcc_lo
	v_add_co_u32 v0, vcc_lo, v0, s6
	s_wait_alu 0xfffd
	v_add_co_ci_u32_e32 v1, vcc_lo, s7, v1, vcc_lo
	s_delay_alu instid0(VALU_DEP_3) | instskip(SKIP_1) | instid1(VALU_DEP_1)
	v_and_or_b32 v5, 0x8000, v8, v5
	v_and_b32_e32 v3, 0xffff, v3
	v_lshl_or_b32 v3, v5, 16, v3
	v_lshrrev_b32_e32 v5, 16, v4
	global_store_b32 v[0:1], v3, off
	global_load_b32 v3, v[20:21], off offset:3724
	s_wait_loadcnt 0x0
	v_lshrrev_b32_e32 v6, 16, v3
	s_delay_alu instid0(VALU_DEP_1) | instskip(SKIP_1) | instid1(VALU_DEP_2)
	v_mul_f16_e32 v7, v5, v6
	v_mul_f16_e32 v6, v4, v6
	v_fmac_f16_e32 v7, v4, v3
	s_delay_alu instid0(VALU_DEP_2) | instskip(NEXT) | instid1(VALU_DEP_2)
	v_fma_f16 v3, v3, v5, -v6
	v_cvt_f32_f16_e32 v4, v7
	s_delay_alu instid0(VALU_DEP_2) | instskip(NEXT) | instid1(VALU_DEP_2)
	v_cvt_f32_f16_e32 v5, v3
	v_cvt_f64_f32_e32 v[3:4], v4
	s_delay_alu instid0(VALU_DEP_2) | instskip(NEXT) | instid1(VALU_DEP_2)
	v_cvt_f64_f32_e32 v[5:6], v5
	v_mul_f64_e32 v[3:4], s[8:9], v[3:4]
	s_delay_alu instid0(VALU_DEP_2) | instskip(NEXT) | instid1(VALU_DEP_2)
	v_mul_f64_e32 v[5:6], s[8:9], v[5:6]
	v_and_or_b32 v3, 0x1ff, v4, v3
	s_delay_alu instid0(VALU_DEP_2)
	v_and_or_b32 v5, 0x1ff, v6, v5
	v_lshrrev_b32_e32 v7, 8, v4
	v_bfe_u32 v8, v4, 20, 11
	v_lshrrev_b32_e32 v9, 8, v6
	v_cmp_ne_u32_e32 vcc_lo, 0, v3
	v_bfe_u32 v10, v6, 20, 11
	v_lshrrev_b32_e32 v4, 16, v4
	v_sub_nc_u32_e32 v11, 0x3f1, v8
	v_add_nc_u32_e32 v8, 0xfffffc10, v8
	s_wait_alu 0xfffd
	v_cndmask_b32_e64 v3, 0, 1, vcc_lo
	v_cmp_ne_u32_e32 vcc_lo, 0, v5
	v_lshrrev_b32_e32 v6, 16, v6
	s_delay_alu instid0(VALU_DEP_3) | instskip(SKIP_4) | instid1(VALU_DEP_3)
	v_and_or_b32 v3, 0xffe, v7, v3
	s_wait_alu 0xfffd
	v_cndmask_b32_e64 v5, 0, 1, vcc_lo
	v_sub_nc_u32_e32 v7, 0x3f1, v10
	v_add_nc_u32_e32 v10, 0xfffffc10, v10
	v_and_or_b32 v5, 0xffe, v9, v5
	v_med3_i32 v9, v11, 0, 13
	v_or_b32_e32 v11, 0x1000, v3
	v_med3_i32 v7, v7, 0, 13
	s_delay_alu instid0(VALU_DEP_4) | instskip(NEXT) | instid1(VALU_DEP_3)
	v_or_b32_e32 v12, 0x1000, v5
	v_lshrrev_b32_e32 v13, v9, v11
	s_delay_alu instid0(VALU_DEP_2) | instskip(NEXT) | instid1(VALU_DEP_2)
	v_lshrrev_b32_e32 v14, v7, v12
	v_lshlrev_b32_e32 v9, v9, v13
	s_delay_alu instid0(VALU_DEP_2) | instskip(NEXT) | instid1(VALU_DEP_2)
	v_lshlrev_b32_e32 v7, v7, v14
	v_cmp_ne_u32_e32 vcc_lo, v9, v11
	v_lshl_or_b32 v11, v8, 12, v3
	s_wait_alu 0xfffd
	v_cndmask_b32_e64 v9, 0, 1, vcc_lo
	v_cmp_ne_u32_e32 vcc_lo, v7, v12
	v_lshl_or_b32 v12, v10, 12, v5
	s_delay_alu instid0(VALU_DEP_3) | instskip(SKIP_3) | instid1(VALU_DEP_2)
	v_or_b32_e32 v9, v13, v9
	s_wait_alu 0xfffd
	v_cndmask_b32_e64 v7, 0, 1, vcc_lo
	v_cmp_gt_i32_e32 vcc_lo, 1, v8
	v_or_b32_e32 v7, v14, v7
	s_wait_alu 0xfffd
	v_cndmask_b32_e32 v9, v11, v9, vcc_lo
	v_cmp_gt_i32_e32 vcc_lo, 1, v10
	s_delay_alu instid0(VALU_DEP_2)
	v_and_b32_e32 v11, 7, v9
	s_wait_alu 0xfffd
	v_cndmask_b32_e32 v7, v12, v7, vcc_lo
	v_cmp_ne_u32_e32 vcc_lo, 0, v3
	v_lshrrev_b32_e32 v9, 2, v9
	v_cmp_eq_u32_e64 s0, 3, v11
	s_delay_alu instid0(VALU_DEP_4)
	v_and_b32_e32 v12, 7, v7
	s_wait_alu 0xfffd
	v_cndmask_b32_e64 v3, 0, 1, vcc_lo
	v_cmp_ne_u32_e32 vcc_lo, 0, v5
	v_lshrrev_b32_e32 v7, 2, v7
	v_cmp_lt_i32_e64 s1, 5, v12
	v_cmp_eq_u32_e64 s2, 3, v12
	s_wait_alu 0xfffd
	v_cndmask_b32_e64 v5, 0, 1, vcc_lo
	v_cmp_lt_i32_e32 vcc_lo, 5, v11
	v_lshl_or_b32 v3, v3, 9, 0x7c00
	s_delay_alu instid0(VALU_DEP_3)
	v_lshl_or_b32 v5, v5, 9, 0x7c00
	s_or_b32 vcc_lo, s0, vcc_lo
	s_wait_alu 0xfffe
	v_add_co_ci_u32_e32 v9, vcc_lo, 0, v9, vcc_lo
	s_or_b32 vcc_lo, s2, s1
	s_wait_alu 0xfffe
	v_add_co_ci_u32_e32 v7, vcc_lo, 0, v7, vcc_lo
	v_cmp_gt_i32_e32 vcc_lo, 31, v8
	s_wait_alu 0xfffd
	v_cndmask_b32_e32 v9, 0x7c00, v9, vcc_lo
	v_cmp_gt_i32_e32 vcc_lo, 31, v10
	s_wait_alu 0xfffd
	v_cndmask_b32_e32 v7, 0x7c00, v7, vcc_lo
	v_cmp_eq_u32_e32 vcc_lo, 0x40f, v8
	s_wait_alu 0xfffd
	v_cndmask_b32_e32 v3, v9, v3, vcc_lo
	v_cmp_eq_u32_e32 vcc_lo, 0x40f, v10
	s_delay_alu instid0(VALU_DEP_2)
	v_and_or_b32 v3, 0x8000, v4, v3
	s_wait_alu 0xfffd
	v_cndmask_b32_e32 v5, v7, v5, vcc_lo
	v_add_co_u32 v0, vcc_lo, v0, s6
	s_wait_alu 0xfffd
	v_add_co_ci_u32_e32 v1, vcc_lo, s7, v1, vcc_lo
	s_delay_alu instid0(VALU_DEP_3) | instskip(SKIP_1) | instid1(VALU_DEP_1)
	v_and_or_b32 v4, 0x8000, v6, v5
	v_and_b32_e32 v3, 0xffff, v3
	v_lshl_or_b32 v3, v4, 16, v3
	global_store_b32 v[0:1], v3, off
	global_load_b32 v4, v[20:21], off offset:4144
	ds_load_2addr_b32 v[2:3], v2 offset0:12 offset1:117
	s_wait_dscnt 0x0
	v_lshrrev_b32_e32 v5, 16, v2
	s_wait_loadcnt 0x0
	v_lshrrev_b32_e32 v6, 16, v4
	s_delay_alu instid0(VALU_DEP_1) | instskip(SKIP_1) | instid1(VALU_DEP_2)
	v_mul_f16_e32 v7, v5, v6
	v_mul_f16_e32 v6, v2, v6
	v_fmac_f16_e32 v7, v2, v4
	s_delay_alu instid0(VALU_DEP_2) | instskip(NEXT) | instid1(VALU_DEP_2)
	v_fma_f16 v2, v4, v5, -v6
	v_cvt_f32_f16_e32 v4, v7
	s_delay_alu instid0(VALU_DEP_2) | instskip(NEXT) | instid1(VALU_DEP_2)
	v_cvt_f32_f16_e32 v2, v2
	v_cvt_f64_f32_e32 v[4:5], v4
	s_delay_alu instid0(VALU_DEP_2) | instskip(NEXT) | instid1(VALU_DEP_2)
	v_cvt_f64_f32_e32 v[6:7], v2
	v_mul_f64_e32 v[4:5], s[8:9], v[4:5]
	s_delay_alu instid0(VALU_DEP_2) | instskip(NEXT) | instid1(VALU_DEP_2)
	v_mul_f64_e32 v[6:7], s[8:9], v[6:7]
	v_and_or_b32 v2, 0x1ff, v5, v4
	s_delay_alu instid0(VALU_DEP_2)
	v_and_or_b32 v6, 0x1ff, v7, v6
	v_lshrrev_b32_e32 v4, 8, v5
	v_bfe_u32 v8, v5, 20, 11
	v_lshrrev_b32_e32 v9, 8, v7
	v_cmp_ne_u32_e32 vcc_lo, 0, v2
	v_bfe_u32 v10, v7, 20, 11
	v_lshrrev_b32_e32 v5, 16, v5
	v_sub_nc_u32_e32 v11, 0x3f1, v8
	v_add_nc_u32_e32 v8, 0xfffffc10, v8
	s_wait_alu 0xfffd
	v_cndmask_b32_e64 v2, 0, 1, vcc_lo
	v_cmp_ne_u32_e32 vcc_lo, 0, v6
	v_lshrrev_b32_e32 v7, 16, v7
	s_delay_alu instid0(VALU_DEP_3) | instskip(SKIP_4) | instid1(VALU_DEP_3)
	v_and_or_b32 v2, 0xffe, v4, v2
	s_wait_alu 0xfffd
	v_cndmask_b32_e64 v6, 0, 1, vcc_lo
	v_sub_nc_u32_e32 v4, 0x3f1, v10
	v_add_nc_u32_e32 v10, 0xfffffc10, v10
	v_and_or_b32 v6, 0xffe, v9, v6
	v_med3_i32 v9, v11, 0, 13
	v_or_b32_e32 v11, 0x1000, v2
	v_med3_i32 v4, v4, 0, 13
	s_delay_alu instid0(VALU_DEP_4) | instskip(NEXT) | instid1(VALU_DEP_3)
	v_or_b32_e32 v12, 0x1000, v6
	v_lshrrev_b32_e32 v13, v9, v11
	s_delay_alu instid0(VALU_DEP_2) | instskip(NEXT) | instid1(VALU_DEP_2)
	v_lshrrev_b32_e32 v14, v4, v12
	v_lshlrev_b32_e32 v9, v9, v13
	s_delay_alu instid0(VALU_DEP_2) | instskip(NEXT) | instid1(VALU_DEP_2)
	v_lshlrev_b32_e32 v4, v4, v14
	v_cmp_ne_u32_e32 vcc_lo, v9, v11
	v_lshl_or_b32 v11, v8, 12, v2
	s_wait_alu 0xfffd
	v_cndmask_b32_e64 v9, 0, 1, vcc_lo
	v_cmp_ne_u32_e32 vcc_lo, v4, v12
	v_lshl_or_b32 v12, v10, 12, v6
	s_delay_alu instid0(VALU_DEP_3) | instskip(SKIP_3) | instid1(VALU_DEP_2)
	v_or_b32_e32 v9, v13, v9
	s_wait_alu 0xfffd
	v_cndmask_b32_e64 v4, 0, 1, vcc_lo
	v_cmp_gt_i32_e32 vcc_lo, 1, v8
	v_or_b32_e32 v4, v14, v4
	s_wait_alu 0xfffd
	v_cndmask_b32_e32 v9, v11, v9, vcc_lo
	v_cmp_gt_i32_e32 vcc_lo, 1, v10
	s_wait_alu 0xfffd
	s_delay_alu instid0(VALU_DEP_2) | instskip(SKIP_2) | instid1(VALU_DEP_3)
	v_dual_cndmask_b32 v4, v12, v4 :: v_dual_and_b32 v11, 7, v9
	v_cmp_ne_u32_e32 vcc_lo, 0, v2
	v_lshrrev_b32_e32 v9, 2, v9
	v_cmp_eq_u32_e64 s0, 3, v11
	s_delay_alu instid0(VALU_DEP_4)
	v_and_b32_e32 v12, 7, v4
	s_wait_alu 0xfffd
	v_cndmask_b32_e64 v2, 0, 1, vcc_lo
	v_cmp_ne_u32_e32 vcc_lo, 0, v6
	v_lshrrev_b32_e32 v4, 2, v4
	v_cmp_lt_i32_e64 s1, 5, v12
	v_cmp_eq_u32_e64 s2, 3, v12
	s_wait_alu 0xfffd
	v_cndmask_b32_e64 v6, 0, 1, vcc_lo
	v_cmp_lt_i32_e32 vcc_lo, 5, v11
	v_lshl_or_b32 v2, v2, 9, 0x7c00
	s_delay_alu instid0(VALU_DEP_3)
	v_lshl_or_b32 v6, v6, 9, 0x7c00
	s_or_b32 vcc_lo, s0, vcc_lo
	s_wait_alu 0xfffe
	v_add_co_ci_u32_e32 v9, vcc_lo, 0, v9, vcc_lo
	s_or_b32 vcc_lo, s2, s1
	s_wait_alu 0xfffe
	v_add_co_ci_u32_e32 v4, vcc_lo, 0, v4, vcc_lo
	v_cmp_gt_i32_e32 vcc_lo, 31, v8
	s_wait_alu 0xfffd
	v_cndmask_b32_e32 v9, 0x7c00, v9, vcc_lo
	v_cmp_gt_i32_e32 vcc_lo, 31, v10
	s_wait_alu 0xfffd
	v_cndmask_b32_e32 v4, 0x7c00, v4, vcc_lo
	v_cmp_eq_u32_e32 vcc_lo, 0x40f, v8
	s_wait_alu 0xfffd
	v_cndmask_b32_e32 v2, v9, v2, vcc_lo
	v_cmp_eq_u32_e32 vcc_lo, 0x40f, v10
	s_delay_alu instid0(VALU_DEP_2)
	v_and_or_b32 v2, 0x8000, v5, v2
	s_wait_alu 0xfffd
	v_cndmask_b32_e32 v4, v4, v6, vcc_lo
	v_add_co_u32 v0, vcc_lo, v0, s6
	s_wait_alu 0xfffd
	v_add_co_ci_u32_e32 v1, vcc_lo, s7, v1, vcc_lo
	s_delay_alu instid0(VALU_DEP_3) | instskip(SKIP_1) | instid1(VALU_DEP_1)
	v_and_or_b32 v4, 0x8000, v7, v4
	v_and_b32_e32 v2, 0xffff, v2
	v_lshl_or_b32 v2, v4, 16, v2
	v_lshrrev_b32_e32 v4, 16, v3
	global_store_b32 v[0:1], v2, off
	global_load_b32 v2, v[20:21], off offset:4564
	s_wait_loadcnt 0x0
	v_lshrrev_b32_e32 v5, 16, v2
	s_delay_alu instid0(VALU_DEP_1) | instskip(SKIP_1) | instid1(VALU_DEP_2)
	v_mul_f16_e32 v6, v4, v5
	v_mul_f16_e32 v5, v3, v5
	v_fmac_f16_e32 v6, v3, v2
	s_delay_alu instid0(VALU_DEP_2) | instskip(NEXT) | instid1(VALU_DEP_2)
	v_fma_f16 v2, v2, v4, -v5
	v_cvt_f32_f16_e32 v3, v6
	s_delay_alu instid0(VALU_DEP_2) | instskip(NEXT) | instid1(VALU_DEP_2)
	v_cvt_f32_f16_e32 v4, v2
	v_cvt_f64_f32_e32 v[2:3], v3
	s_delay_alu instid0(VALU_DEP_2) | instskip(NEXT) | instid1(VALU_DEP_2)
	v_cvt_f64_f32_e32 v[4:5], v4
	v_mul_f64_e32 v[2:3], s[8:9], v[2:3]
	s_delay_alu instid0(VALU_DEP_2) | instskip(NEXT) | instid1(VALU_DEP_2)
	v_mul_f64_e32 v[4:5], s[8:9], v[4:5]
	v_and_or_b32 v2, 0x1ff, v3, v2
	s_delay_alu instid0(VALU_DEP_2)
	v_and_or_b32 v4, 0x1ff, v5, v4
	v_lshrrev_b32_e32 v6, 8, v3
	v_bfe_u32 v7, v3, 20, 11
	v_lshrrev_b32_e32 v8, 8, v5
	v_cmp_ne_u32_e32 vcc_lo, 0, v2
	v_bfe_u32 v9, v5, 20, 11
	v_lshrrev_b32_e32 v3, 16, v3
	v_sub_nc_u32_e32 v10, 0x3f1, v7
	v_add_nc_u32_e32 v7, 0xfffffc10, v7
	s_wait_alu 0xfffd
	v_cndmask_b32_e64 v2, 0, 1, vcc_lo
	v_cmp_ne_u32_e32 vcc_lo, 0, v4
	v_lshrrev_b32_e32 v5, 16, v5
	s_delay_alu instid0(VALU_DEP_3) | instskip(SKIP_4) | instid1(VALU_DEP_3)
	v_and_or_b32 v2, 0xffe, v6, v2
	s_wait_alu 0xfffd
	v_cndmask_b32_e64 v4, 0, 1, vcc_lo
	v_sub_nc_u32_e32 v6, 0x3f1, v9
	v_add_nc_u32_e32 v9, 0xfffffc10, v9
	v_and_or_b32 v4, 0xffe, v8, v4
	v_med3_i32 v8, v10, 0, 13
	v_or_b32_e32 v10, 0x1000, v2
	v_med3_i32 v6, v6, 0, 13
	s_delay_alu instid0(VALU_DEP_4) | instskip(NEXT) | instid1(VALU_DEP_3)
	v_or_b32_e32 v11, 0x1000, v4
	v_lshrrev_b32_e32 v12, v8, v10
	s_delay_alu instid0(VALU_DEP_2) | instskip(NEXT) | instid1(VALU_DEP_2)
	v_lshrrev_b32_e32 v13, v6, v11
	v_lshlrev_b32_e32 v8, v8, v12
	s_delay_alu instid0(VALU_DEP_2) | instskip(NEXT) | instid1(VALU_DEP_2)
	v_lshlrev_b32_e32 v6, v6, v13
	v_cmp_ne_u32_e32 vcc_lo, v8, v10
	v_lshl_or_b32 v10, v7, 12, v2
	s_wait_alu 0xfffd
	v_cndmask_b32_e64 v8, 0, 1, vcc_lo
	v_cmp_ne_u32_e32 vcc_lo, v6, v11
	v_lshl_or_b32 v11, v9, 12, v4
	s_delay_alu instid0(VALU_DEP_3) | instskip(SKIP_3) | instid1(VALU_DEP_2)
	v_or_b32_e32 v8, v12, v8
	s_wait_alu 0xfffd
	v_cndmask_b32_e64 v6, 0, 1, vcc_lo
	v_cmp_gt_i32_e32 vcc_lo, 1, v7
	v_or_b32_e32 v6, v13, v6
	s_wait_alu 0xfffd
	v_cndmask_b32_e32 v8, v10, v8, vcc_lo
	v_cmp_gt_i32_e32 vcc_lo, 1, v9
	s_delay_alu instid0(VALU_DEP_2)
	v_and_b32_e32 v10, 7, v8
	s_wait_alu 0xfffd
	v_cndmask_b32_e32 v6, v11, v6, vcc_lo
	v_cmp_ne_u32_e32 vcc_lo, 0, v2
	v_lshrrev_b32_e32 v8, 2, v8
	v_cmp_eq_u32_e64 s0, 3, v10
	s_delay_alu instid0(VALU_DEP_4)
	v_and_b32_e32 v11, 7, v6
	s_wait_alu 0xfffd
	v_cndmask_b32_e64 v2, 0, 1, vcc_lo
	v_cmp_ne_u32_e32 vcc_lo, 0, v4
	v_lshrrev_b32_e32 v6, 2, v6
	v_cmp_lt_i32_e64 s1, 5, v11
	v_cmp_eq_u32_e64 s2, 3, v11
	s_wait_alu 0xfffd
	v_cndmask_b32_e64 v4, 0, 1, vcc_lo
	v_cmp_lt_i32_e32 vcc_lo, 5, v10
	v_lshl_or_b32 v2, v2, 9, 0x7c00
	s_delay_alu instid0(VALU_DEP_3)
	v_lshl_or_b32 v4, v4, 9, 0x7c00
	s_or_b32 vcc_lo, s0, vcc_lo
	s_wait_alu 0xfffe
	v_add_co_ci_u32_e32 v8, vcc_lo, 0, v8, vcc_lo
	s_or_b32 vcc_lo, s2, s1
	s_wait_alu 0xfffe
	v_add_co_ci_u32_e32 v6, vcc_lo, 0, v6, vcc_lo
	v_cmp_gt_i32_e32 vcc_lo, 31, v7
	s_wait_alu 0xfffd
	v_cndmask_b32_e32 v8, 0x7c00, v8, vcc_lo
	v_cmp_gt_i32_e32 vcc_lo, 31, v9
	s_wait_alu 0xfffd
	v_cndmask_b32_e32 v6, 0x7c00, v6, vcc_lo
	v_cmp_eq_u32_e32 vcc_lo, 0x40f, v7
	s_wait_alu 0xfffd
	v_cndmask_b32_e32 v2, v8, v2, vcc_lo
	v_cmp_eq_u32_e32 vcc_lo, 0x40f, v9
	s_delay_alu instid0(VALU_DEP_2)
	v_and_or_b32 v2, 0x8000, v3, v2
	s_wait_alu 0xfffd
	v_cndmask_b32_e32 v4, v6, v4, vcc_lo
	v_add_co_u32 v0, vcc_lo, v0, s6
	s_wait_alu 0xfffd
	v_add_co_ci_u32_e32 v1, vcc_lo, s7, v1, vcc_lo
	s_delay_alu instid0(VALU_DEP_3) | instskip(SKIP_1) | instid1(VALU_DEP_1)
	v_and_or_b32 v3, 0x8000, v5, v4
	v_and_b32_e32 v2, 0xffff, v2
	v_lshl_or_b32 v2, v3, 16, v2
	global_store_b32 v[0:1], v2, off
	global_load_b32 v4, v[20:21], off offset:4984
	v_add_nc_u32_e32 v2, 0x1200, v67
	ds_load_2addr_b32 v[2:3], v2 offset0:94 offset1:199
	s_wait_dscnt 0x0
	v_lshrrev_b32_e32 v5, 16, v2
	s_wait_loadcnt 0x0
	v_lshrrev_b32_e32 v6, 16, v4
	s_delay_alu instid0(VALU_DEP_1) | instskip(SKIP_1) | instid1(VALU_DEP_2)
	v_mul_f16_e32 v7, v5, v6
	v_mul_f16_e32 v6, v2, v6
	v_fmac_f16_e32 v7, v2, v4
	s_delay_alu instid0(VALU_DEP_2) | instskip(NEXT) | instid1(VALU_DEP_2)
	v_fma_f16 v2, v4, v5, -v6
	v_cvt_f32_f16_e32 v4, v7
	s_delay_alu instid0(VALU_DEP_2) | instskip(NEXT) | instid1(VALU_DEP_2)
	v_cvt_f32_f16_e32 v2, v2
	v_cvt_f64_f32_e32 v[4:5], v4
	s_delay_alu instid0(VALU_DEP_2) | instskip(NEXT) | instid1(VALU_DEP_2)
	v_cvt_f64_f32_e32 v[6:7], v2
	v_mul_f64_e32 v[4:5], s[8:9], v[4:5]
	s_delay_alu instid0(VALU_DEP_2) | instskip(NEXT) | instid1(VALU_DEP_2)
	v_mul_f64_e32 v[6:7], s[8:9], v[6:7]
	v_and_or_b32 v2, 0x1ff, v5, v4
	s_delay_alu instid0(VALU_DEP_2)
	v_and_or_b32 v6, 0x1ff, v7, v6
	v_lshrrev_b32_e32 v4, 8, v5
	v_bfe_u32 v8, v5, 20, 11
	v_lshrrev_b32_e32 v9, 8, v7
	v_cmp_ne_u32_e32 vcc_lo, 0, v2
	v_bfe_u32 v10, v7, 20, 11
	v_lshrrev_b32_e32 v5, 16, v5
	v_sub_nc_u32_e32 v11, 0x3f1, v8
	v_add_nc_u32_e32 v8, 0xfffffc10, v8
	s_wait_alu 0xfffd
	v_cndmask_b32_e64 v2, 0, 1, vcc_lo
	v_cmp_ne_u32_e32 vcc_lo, 0, v6
	v_lshrrev_b32_e32 v7, 16, v7
	s_delay_alu instid0(VALU_DEP_3) | instskip(SKIP_4) | instid1(VALU_DEP_3)
	v_and_or_b32 v2, 0xffe, v4, v2
	s_wait_alu 0xfffd
	v_cndmask_b32_e64 v6, 0, 1, vcc_lo
	v_sub_nc_u32_e32 v4, 0x3f1, v10
	v_add_nc_u32_e32 v10, 0xfffffc10, v10
	v_and_or_b32 v6, 0xffe, v9, v6
	v_med3_i32 v9, v11, 0, 13
	v_or_b32_e32 v11, 0x1000, v2
	v_med3_i32 v4, v4, 0, 13
	s_delay_alu instid0(VALU_DEP_4) | instskip(NEXT) | instid1(VALU_DEP_3)
	v_or_b32_e32 v12, 0x1000, v6
	v_lshrrev_b32_e32 v13, v9, v11
	s_delay_alu instid0(VALU_DEP_2) | instskip(NEXT) | instid1(VALU_DEP_2)
	v_lshrrev_b32_e32 v14, v4, v12
	v_lshlrev_b32_e32 v9, v9, v13
	s_delay_alu instid0(VALU_DEP_2) | instskip(NEXT) | instid1(VALU_DEP_2)
	v_lshlrev_b32_e32 v4, v4, v14
	v_cmp_ne_u32_e32 vcc_lo, v9, v11
	v_lshl_or_b32 v11, v8, 12, v2
	s_wait_alu 0xfffd
	v_cndmask_b32_e64 v9, 0, 1, vcc_lo
	v_cmp_ne_u32_e32 vcc_lo, v4, v12
	v_lshl_or_b32 v12, v10, 12, v6
	s_delay_alu instid0(VALU_DEP_3) | instskip(SKIP_3) | instid1(VALU_DEP_2)
	v_or_b32_e32 v9, v13, v9
	s_wait_alu 0xfffd
	v_cndmask_b32_e64 v4, 0, 1, vcc_lo
	v_cmp_gt_i32_e32 vcc_lo, 1, v8
	v_or_b32_e32 v4, v14, v4
	s_wait_alu 0xfffd
	v_cndmask_b32_e32 v9, v11, v9, vcc_lo
	v_cmp_gt_i32_e32 vcc_lo, 1, v10
	s_wait_alu 0xfffd
	s_delay_alu instid0(VALU_DEP_2) | instskip(SKIP_2) | instid1(VALU_DEP_3)
	v_dual_cndmask_b32 v4, v12, v4 :: v_dual_and_b32 v11, 7, v9
	v_cmp_ne_u32_e32 vcc_lo, 0, v2
	v_lshrrev_b32_e32 v9, 2, v9
	v_cmp_eq_u32_e64 s0, 3, v11
	s_delay_alu instid0(VALU_DEP_4)
	v_and_b32_e32 v12, 7, v4
	s_wait_alu 0xfffd
	v_cndmask_b32_e64 v2, 0, 1, vcc_lo
	v_cmp_ne_u32_e32 vcc_lo, 0, v6
	v_lshrrev_b32_e32 v4, 2, v4
	v_cmp_lt_i32_e64 s1, 5, v12
	v_cmp_eq_u32_e64 s2, 3, v12
	s_wait_alu 0xfffd
	v_cndmask_b32_e64 v6, 0, 1, vcc_lo
	v_cmp_lt_i32_e32 vcc_lo, 5, v11
	v_lshl_or_b32 v2, v2, 9, 0x7c00
	s_delay_alu instid0(VALU_DEP_3)
	v_lshl_or_b32 v6, v6, 9, 0x7c00
	s_or_b32 vcc_lo, s0, vcc_lo
	s_wait_alu 0xfffe
	v_add_co_ci_u32_e32 v9, vcc_lo, 0, v9, vcc_lo
	s_or_b32 vcc_lo, s2, s1
	s_wait_alu 0xfffe
	v_add_co_ci_u32_e32 v4, vcc_lo, 0, v4, vcc_lo
	v_cmp_gt_i32_e32 vcc_lo, 31, v8
	s_wait_alu 0xfffd
	v_cndmask_b32_e32 v9, 0x7c00, v9, vcc_lo
	v_cmp_gt_i32_e32 vcc_lo, 31, v10
	s_wait_alu 0xfffd
	v_cndmask_b32_e32 v4, 0x7c00, v4, vcc_lo
	v_cmp_eq_u32_e32 vcc_lo, 0x40f, v8
	s_wait_alu 0xfffd
	v_cndmask_b32_e32 v2, v9, v2, vcc_lo
	v_cmp_eq_u32_e32 vcc_lo, 0x40f, v10
	s_delay_alu instid0(VALU_DEP_2)
	v_and_or_b32 v2, 0x8000, v5, v2
	s_wait_alu 0xfffd
	v_cndmask_b32_e32 v4, v4, v6, vcc_lo
	v_add_co_u32 v0, vcc_lo, v0, s6
	s_wait_alu 0xfffd
	v_add_co_ci_u32_e32 v1, vcc_lo, s7, v1, vcc_lo
	s_delay_alu instid0(VALU_DEP_3) | instskip(SKIP_1) | instid1(VALU_DEP_1)
	v_and_or_b32 v4, 0x8000, v7, v4
	v_and_b32_e32 v2, 0xffff, v2
	v_lshl_or_b32 v2, v4, 16, v2
	v_lshrrev_b32_e32 v4, 16, v3
	global_store_b32 v[0:1], v2, off
	global_load_b32 v2, v[20:21], off offset:5404
	s_wait_loadcnt 0x0
	v_lshrrev_b32_e32 v5, 16, v2
	s_delay_alu instid0(VALU_DEP_1) | instskip(SKIP_1) | instid1(VALU_DEP_2)
	v_mul_f16_e32 v6, v4, v5
	v_mul_f16_e32 v5, v3, v5
	v_fmac_f16_e32 v6, v3, v2
	s_delay_alu instid0(VALU_DEP_2) | instskip(NEXT) | instid1(VALU_DEP_2)
	v_fma_f16 v2, v2, v4, -v5
	v_cvt_f32_f16_e32 v3, v6
	s_delay_alu instid0(VALU_DEP_2) | instskip(NEXT) | instid1(VALU_DEP_2)
	v_cvt_f32_f16_e32 v4, v2
	v_cvt_f64_f32_e32 v[2:3], v3
	s_delay_alu instid0(VALU_DEP_2) | instskip(NEXT) | instid1(VALU_DEP_2)
	v_cvt_f64_f32_e32 v[4:5], v4
	v_mul_f64_e32 v[2:3], s[8:9], v[2:3]
	s_delay_alu instid0(VALU_DEP_2) | instskip(NEXT) | instid1(VALU_DEP_2)
	v_mul_f64_e32 v[4:5], s[8:9], v[4:5]
	v_and_or_b32 v2, 0x1ff, v3, v2
	s_delay_alu instid0(VALU_DEP_2)
	v_and_or_b32 v4, 0x1ff, v5, v4
	v_lshrrev_b32_e32 v6, 8, v3
	v_bfe_u32 v7, v3, 20, 11
	v_lshrrev_b32_e32 v8, 8, v5
	v_cmp_ne_u32_e32 vcc_lo, 0, v2
	v_bfe_u32 v9, v5, 20, 11
	v_lshrrev_b32_e32 v3, 16, v3
	v_sub_nc_u32_e32 v10, 0x3f1, v7
	v_lshrrev_b32_e32 v5, 16, v5
	s_wait_alu 0xfffd
	v_cndmask_b32_e64 v2, 0, 1, vcc_lo
	v_cmp_ne_u32_e32 vcc_lo, 0, v4
	s_delay_alu instid0(VALU_DEP_2) | instskip(SKIP_4) | instid1(VALU_DEP_3)
	v_and_or_b32 v2, 0xffe, v6, v2
	s_wait_alu 0xfffd
	v_cndmask_b32_e64 v4, 0, 1, vcc_lo
	v_sub_nc_u32_e32 v6, 0x3f1, v9
	v_add_nc_u32_e32 v9, 0xfffffc10, v9
	v_and_or_b32 v4, 0xffe, v8, v4
	v_med3_i32 v8, v10, 0, 13
	v_or_b32_e32 v10, 0x1000, v2
	v_med3_i32 v6, v6, 0, 13
	s_delay_alu instid0(VALU_DEP_4) | instskip(NEXT) | instid1(VALU_DEP_3)
	v_or_b32_e32 v11, 0x1000, v4
	v_lshrrev_b32_e32 v12, v8, v10
	s_delay_alu instid0(VALU_DEP_2) | instskip(NEXT) | instid1(VALU_DEP_2)
	v_lshrrev_b32_e32 v13, v6, v11
	v_lshlrev_b32_e32 v8, v8, v12
	s_delay_alu instid0(VALU_DEP_2) | instskip(NEXT) | instid1(VALU_DEP_2)
	v_lshlrev_b32_e32 v6, v6, v13
	v_cmp_ne_u32_e32 vcc_lo, v8, v10
	s_wait_alu 0xfffd
	v_cndmask_b32_e64 v8, 0, 1, vcc_lo
	s_delay_alu instid0(VALU_DEP_3) | instskip(SKIP_1) | instid1(VALU_DEP_3)
	v_cmp_ne_u32_e32 vcc_lo, v6, v11
	v_lshl_or_b32 v11, v9, 12, v4
	v_or_b32_e32 v8, v12, v8
	s_wait_alu 0xfffd
	v_cndmask_b32_e64 v6, 0, 1, vcc_lo
	s_delay_alu instid0(VALU_DEP_1) | instskip(SKIP_1) | instid1(VALU_DEP_1)
	v_or_b32_e32 v6, v13, v6
	v_add_nc_u32_e32 v7, 0xfffffc10, v7
	v_lshl_or_b32 v10, v7, 12, v2
	v_cmp_gt_i32_e32 vcc_lo, 1, v7
	s_wait_alu 0xfffd
	s_delay_alu instid0(VALU_DEP_2) | instskip(SKIP_1) | instid1(VALU_DEP_2)
	v_cndmask_b32_e32 v8, v10, v8, vcc_lo
	v_cmp_gt_i32_e32 vcc_lo, 1, v9
	v_and_b32_e32 v10, 7, v8
	s_wait_alu 0xfffd
	v_cndmask_b32_e32 v6, v11, v6, vcc_lo
	v_cmp_ne_u32_e32 vcc_lo, 0, v2
	v_lshrrev_b32_e32 v8, 2, v8
	v_cmp_eq_u32_e64 s0, 3, v10
	s_wait_alu 0xfffd
	v_cndmask_b32_e64 v2, 0, 1, vcc_lo
	v_cmp_ne_u32_e32 vcc_lo, 0, v4
	s_delay_alu instid0(VALU_DEP_2) | instskip(SKIP_3) | instid1(VALU_DEP_2)
	v_lshl_or_b32 v2, v2, 9, 0x7c00
	s_wait_alu 0xfffd
	v_cndmask_b32_e64 v4, 0, 1, vcc_lo
	v_cmp_lt_i32_e32 vcc_lo, 5, v10
	v_lshl_or_b32 v4, v4, 9, 0x7c00
	v_and_b32_e32 v11, 7, v6
	v_lshrrev_b32_e32 v6, 2, v6
	s_or_b32 vcc_lo, s0, vcc_lo
	s_wait_alu 0xfffe
	v_add_co_ci_u32_e32 v8, vcc_lo, 0, v8, vcc_lo
	v_cmp_lt_i32_e64 s1, 5, v11
	v_cmp_eq_u32_e64 s2, 3, v11
	s_delay_alu instid0(VALU_DEP_1)
	s_or_b32 vcc_lo, s2, s1
	s_wait_alu 0xfffe
	v_add_co_ci_u32_e32 v6, vcc_lo, 0, v6, vcc_lo
	v_cmp_gt_i32_e32 vcc_lo, 31, v7
	s_wait_alu 0xfffd
	v_cndmask_b32_e32 v8, 0x7c00, v8, vcc_lo
	v_cmp_gt_i32_e32 vcc_lo, 31, v9
	s_wait_alu 0xfffd
	v_cndmask_b32_e32 v6, 0x7c00, v6, vcc_lo
	v_cmp_eq_u32_e32 vcc_lo, 0x40f, v7
	s_wait_alu 0xfffd
	v_cndmask_b32_e32 v2, v8, v2, vcc_lo
	v_cmp_eq_u32_e32 vcc_lo, 0x40f, v9
	s_delay_alu instid0(VALU_DEP_2)
	v_and_or_b32 v2, 0x8000, v3, v2
	s_wait_alu 0xfffd
	v_cndmask_b32_e32 v4, v6, v4, vcc_lo
	v_add_co_u32 v0, vcc_lo, v0, s6
	s_wait_alu 0xfffd
	v_add_co_ci_u32_e32 v1, vcc_lo, s7, v1, vcc_lo
	s_delay_alu instid0(VALU_DEP_3) | instskip(SKIP_1) | instid1(VALU_DEP_1)
	v_and_or_b32 v3, 0x8000, v5, v4
	v_and_b32_e32 v2, 0xffff, v2
	v_lshl_or_b32 v2, v3, 16, v2
	global_store_b32 v[0:1], v2, off
.LBB0_23:
	s_nop 0
	s_sendmsg sendmsg(MSG_DEALLOC_VGPRS)
	s_endpgm
	.section	.rodata,"a",@progbits
	.p2align	6, 0x0
	.amdhsa_kernel bluestein_single_back_len1365_dim1_half_op_CI_CI
		.amdhsa_group_segment_fixed_size 10920
		.amdhsa_private_segment_fixed_size 12
		.amdhsa_kernarg_size 104
		.amdhsa_user_sgpr_count 2
		.amdhsa_user_sgpr_dispatch_ptr 0
		.amdhsa_user_sgpr_queue_ptr 0
		.amdhsa_user_sgpr_kernarg_segment_ptr 1
		.amdhsa_user_sgpr_dispatch_id 0
		.amdhsa_user_sgpr_private_segment_size 0
		.amdhsa_wavefront_size32 1
		.amdhsa_uses_dynamic_stack 0
		.amdhsa_enable_private_segment 1
		.amdhsa_system_sgpr_workgroup_id_x 1
		.amdhsa_system_sgpr_workgroup_id_y 0
		.amdhsa_system_sgpr_workgroup_id_z 0
		.amdhsa_system_sgpr_workgroup_info 0
		.amdhsa_system_vgpr_workitem_id 0
		.amdhsa_next_free_vgpr 256
		.amdhsa_next_free_sgpr 16
		.amdhsa_reserve_vcc 1
		.amdhsa_float_round_mode_32 0
		.amdhsa_float_round_mode_16_64 0
		.amdhsa_float_denorm_mode_32 3
		.amdhsa_float_denorm_mode_16_64 3
		.amdhsa_fp16_overflow 0
		.amdhsa_workgroup_processor_mode 1
		.amdhsa_memory_ordered 1
		.amdhsa_forward_progress 0
		.amdhsa_round_robin_scheduling 0
		.amdhsa_exception_fp_ieee_invalid_op 0
		.amdhsa_exception_fp_denorm_src 0
		.amdhsa_exception_fp_ieee_div_zero 0
		.amdhsa_exception_fp_ieee_overflow 0
		.amdhsa_exception_fp_ieee_underflow 0
		.amdhsa_exception_fp_ieee_inexact 0
		.amdhsa_exception_int_div_zero 0
	.end_amdhsa_kernel
	.text
.Lfunc_end0:
	.size	bluestein_single_back_len1365_dim1_half_op_CI_CI, .Lfunc_end0-bluestein_single_back_len1365_dim1_half_op_CI_CI
                                        ; -- End function
	.section	.AMDGPU.csdata,"",@progbits
; Kernel info:
; codeLenInByte = 50908
; NumSgprs: 18
; NumVgprs: 256
; ScratchSize: 12
; MemoryBound: 0
; FloatMode: 240
; IeeeMode: 1
; LDSByteSize: 10920 bytes/workgroup (compile time only)
; SGPRBlocks: 2
; VGPRBlocks: 31
; NumSGPRsForWavesPerEU: 18
; NumVGPRsForWavesPerEU: 256
; Occupancy: 5
; WaveLimiterHint : 1
; COMPUTE_PGM_RSRC2:SCRATCH_EN: 1
; COMPUTE_PGM_RSRC2:USER_SGPR: 2
; COMPUTE_PGM_RSRC2:TRAP_HANDLER: 0
; COMPUTE_PGM_RSRC2:TGID_X_EN: 1
; COMPUTE_PGM_RSRC2:TGID_Y_EN: 0
; COMPUTE_PGM_RSRC2:TGID_Z_EN: 0
; COMPUTE_PGM_RSRC2:TIDIG_COMP_CNT: 0
	.text
	.p2alignl 7, 3214868480
	.fill 96, 4, 3214868480
	.type	__hip_cuid_e38acedb6d45c638,@object ; @__hip_cuid_e38acedb6d45c638
	.section	.bss,"aw",@nobits
	.globl	__hip_cuid_e38acedb6d45c638
__hip_cuid_e38acedb6d45c638:
	.byte	0                               ; 0x0
	.size	__hip_cuid_e38acedb6d45c638, 1

	.ident	"AMD clang version 19.0.0git (https://github.com/RadeonOpenCompute/llvm-project roc-6.4.0 25133 c7fe45cf4b819c5991fe208aaa96edf142730f1d)"
	.section	".note.GNU-stack","",@progbits
	.addrsig
	.addrsig_sym __hip_cuid_e38acedb6d45c638
	.amdgpu_metadata
---
amdhsa.kernels:
  - .args:
      - .actual_access:  read_only
        .address_space:  global
        .offset:         0
        .size:           8
        .value_kind:     global_buffer
      - .actual_access:  read_only
        .address_space:  global
        .offset:         8
        .size:           8
        .value_kind:     global_buffer
      - .actual_access:  read_only
        .address_space:  global
        .offset:         16
        .size:           8
        .value_kind:     global_buffer
      - .actual_access:  read_only
        .address_space:  global
        .offset:         24
        .size:           8
        .value_kind:     global_buffer
      - .actual_access:  read_only
        .address_space:  global
        .offset:         32
        .size:           8
        .value_kind:     global_buffer
      - .offset:         40
        .size:           8
        .value_kind:     by_value
      - .address_space:  global
        .offset:         48
        .size:           8
        .value_kind:     global_buffer
      - .address_space:  global
        .offset:         56
        .size:           8
        .value_kind:     global_buffer
      - .address_space:  global
        .offset:         64
        .size:           8
        .value_kind:     global_buffer
      - .address_space:  global
        .offset:         72
        .size:           8
        .value_kind:     global_buffer
      - .offset:         80
        .size:           4
        .value_kind:     by_value
      - .address_space:  global
        .offset:         88
        .size:           8
        .value_kind:     global_buffer
      - .address_space:  global
        .offset:         96
        .size:           8
        .value_kind:     global_buffer
    .group_segment_fixed_size: 10920
    .kernarg_segment_align: 8
    .kernarg_segment_size: 104
    .language:       OpenCL C
    .language_version:
      - 2
      - 0
    .max_flat_workgroup_size: 182
    .name:           bluestein_single_back_len1365_dim1_half_op_CI_CI
    .private_segment_fixed_size: 12
    .sgpr_count:     18
    .sgpr_spill_count: 0
    .symbol:         bluestein_single_back_len1365_dim1_half_op_CI_CI.kd
    .uniform_work_group_size: 1
    .uses_dynamic_stack: false
    .vgpr_count:     256
    .vgpr_spill_count: 2
    .wavefront_size: 32
    .workgroup_processor_mode: 1
amdhsa.target:   amdgcn-amd-amdhsa--gfx1201
amdhsa.version:
  - 1
  - 2
...

	.end_amdgpu_metadata
